;; amdgpu-corpus repo=vllm-project/vllm kind=triton arch=gfx950 opt=O3 lang=triton
	.amdgcn_target "amdgcn-amd-amdhsa--gfx950"
	.amdhsa_code_object_version 5
	.text
	.globl	_w8a8_block_int8_matmul         ; -- Begin function _w8a8_block_int8_matmul
	.p2align	8
	.type	_w8a8_block_int8_matmul,@function
_w8a8_block_int8_matmul:                ; @_w8a8_block_int8_matmul
.Lfunc_begin0:
	.cfi_sections .debug_frame
	.cfi_startproc
; %bb.756:
	.file	1 "/root/src/amdgpu-assembly/repos/vllm-project__vllm/triton_aot_kernels" "int8_utils_aot.py"
	.loc	1 33 0 prologue_end             ; int8_utils_aot.py:33:0
	s_load_dwordx2 s[2:3], s[0:1], 0x0
	s_load_dwordx8 s[4:11], s[0:1], 0x8
	s_load_dwordx4 s[12:15], s[0:1], 0x28
	s_waitcnt lgkmcnt(0)
	s_branch .LBB0_0
	.loc	1 0 0 is_stmt 0                 ; :0:0
.Ltmp0:
	.p2align	8
; %bb.757:
.LBB0_0:
                                        ; implicit-def: $vgpr255 : SGPR spill to VGPR lane
.Ltmp1:
	.loc	1 73 22 is_stmt 1               ; int8_utils_aot.py:73:22
	s_abs_i32 s21, s16
	v_writelane_b32 v255, s6, 0
	.loc	1 92 20                         ; int8_utils_aot.py:92:20
	v_readfirstlane_b32 s74, v0
	.loc	1 73 22                         ; int8_utils_aot.py:73:22
	s_ashr_i32 s20, s16, 31
	v_writelane_b32 v255, s7, 1
.Ltmp2:
	.file	2 "/root/.local/lib/python3.13/site-packages/triton/language" "standard.py"
	.loc	2 43 17                         ; standard.py:43:17 @[ int8_utils_aot.py:71:27 ]
	s_add_i32 s7, s13, 0x7f
	.loc	2 43 30 is_stmt 0               ; standard.py:43:30 @[ int8_utils_aot.py:71:27 ]
	s_ashr_i32 s17, s7, 31
	s_lshr_b32 s17, s17, 25
	s_add_i32 s7, s7, s17
	s_ashr_i32 s17, s7, 7
.Ltmp3:
	.loc	1 72 38 is_stmt 1               ; int8_utils_aot.py:72:38
	s_lshl_b32 s17, s17, 3
	.loc	1 73 22                         ; int8_utils_aot.py:73:22
	s_abs_i32 s18, s17
	v_cvt_f32_u32_e32 v1, s18
.Ltmp4:
	.loc	2 43 17                         ; standard.py:43:17 @[ int8_utils_aot.py:70:27 ]
	s_add_i32 s6, s12, 63
	.loc	2 43 30 is_stmt 0               ; standard.py:43:30 @[ int8_utils_aot.py:70:27 ]
	s_ashr_i32 s19, s6, 31
	s_lshr_b32 s19, s19, 26
.Ltmp5:
	.loc	1 73 22 is_stmt 1               ; int8_utils_aot.py:73:22
	v_rcp_iflag_f32_e32 v1, v1
.Ltmp6:
	.loc	2 43 30                         ; standard.py:43:30 @[ int8_utils_aot.py:70:27 ]
	s_add_i32 s6, s6, s19
.Ltmp7:
	.loc	1 73 22                         ; int8_utils_aot.py:73:22
	s_sub_i32 s19, 0, s18
	s_ashr_i32 s7, s7, 31
	v_mul_f32_e32 v1, 0x4f7ffffe, v1
	v_cvt_u32_f32_e32 v1, v1
	.loc	1 114 21                        ; int8_utils_aot.py:114:21
	s_and_b32 s76, s74, 0xc0
.Ltmp8:
	.loc	2 43 30                         ; standard.py:43:30 @[ int8_utils_aot.py:70:27 ]
	s_ashr_i32 s6, s6, 6
.Ltmp9:
	.loc	1 73 22                         ; int8_utils_aot.py:73:22
	s_xor_b32 s7, s20, s7
	v_readfirstlane_b32 s22, v1
	s_mul_i32 s19, s19, s22
	s_mul_hi_u32 s19, s22, s19
	s_add_i32 s22, s22, s19
	s_mul_hi_u32 s19, s21, s22
	s_mul_i32 s22, s19, s18
	s_sub_i32 s22, s21, s22
	s_add_i32 s23, s19, 1
	s_sub_i32 s24, s22, s18
	s_cmp_ge_u32 s22, s18
	s_cselect_b32 s19, s23, s19
	s_cselect_b32 s22, s24, s22
	s_add_i32 s23, s19, 1
	s_cmp_ge_u32 s22, s18
	s_cselect_b32 s18, s23, s19
	s_xor_b32 s18, s18, s7
	s_sub_i32 s7, s18, s7
	.loc	1 74 29                         ; int8_utils_aot.py:74:29
	s_lshl_b32 s22, s7, 3
	.loc	1 75 35                         ; int8_utils_aot.py:75:35
	s_sub_i32 s6, s6, s22
	.loc	1 75 48 is_stmt 0               ; int8_utils_aot.py:75:48
	s_min_i32 s24, s6, 8
	.loc	1 76 33 is_stmt 1               ; int8_utils_aot.py:76:33
	s_abs_i32 s6, s24
	v_cvt_f32_u32_e32 v1, s6
	s_sub_i32 s23, 0, s6
	.loc	1 77 19                         ; int8_utils_aot.py:77:19
	s_mul_i32 s7, s7, s17
	s_load_dwordx2 s[18:19], s[0:1], 0x3c
	.loc	1 76 33                         ; int8_utils_aot.py:76:33
	v_rcp_iflag_f32_e32 v1, v1
	v_mov_b32_e32 v90, 0
	v_mov_b32_e32 v91, 0
	v_mul_f32_e32 v1, 0x4f7ffffe, v1
	v_cvt_u32_f32_e32 v1, v1
	s_nop 0
	v_readfirstlane_b32 s25, v1
	s_mul_i32 s23, s23, s25
	s_mul_hi_u32 s23, s25, s23
	s_add_i32 s23, s25, s23
	s_mul_hi_u32 s25, s21, s23
	s_mul_i32 s25, s25, s6
	s_sub_i32 s21, s21, s25
	s_sub_i32 s25, s21, s6
	s_cmp_ge_u32 s21, s6
	s_cselect_b32 s21, s25, s21
	s_sub_i32 s25, s21, s6
	s_cmp_ge_u32 s21, s6
	s_cselect_b32 s21, s25, s21
	.loc	1 77 19                         ; int8_utils_aot.py:77:19
	s_sub_i32 s25, s16, s7
	.loc	1 77 40 is_stmt 0               ; int8_utils_aot.py:77:40
	s_abs_i32 s7, s25
	s_mul_hi_u32 s16, s7, s23
	.loc	1 76 33 is_stmt 1               ; int8_utils_aot.py:76:33
	s_xor_b32 s21, s21, s20
	.loc	1 77 40                         ; int8_utils_aot.py:77:40
	s_mul_i32 s17, s16, s6
	.loc	1 76 33                         ; int8_utils_aot.py:76:33
	s_sub_i32 s20, s21, s20
	.loc	1 77 40                         ; int8_utils_aot.py:77:40
	s_sub_i32 s7, s7, s17
	.loc	1 76 27                         ; int8_utils_aot.py:76:27
	s_add_i32 s22, s22, s20
	.loc	1 77 40                         ; int8_utils_aot.py:77:40
	s_add_i32 s17, s16, 1
	s_sub_i32 s20, s7, s6
	s_cmp_ge_u32 s7, s6
	s_cselect_b32 s16, s17, s16
	s_cselect_b32 s7, s20, s7
	s_add_i32 s17, s16, 1
	s_cmp_ge_u32 s7, s6
	s_cselect_b32 s6, s17, s16
	.loc	1 79 68                         ; int8_utils_aot.py:79:68
	s_abs_i32 s78, s12
	v_cvt_f32_u32_e32 v2, s78
	.loc	1 79 23 is_stmt 0               ; int8_utils_aot.py:79:23
	s_lshl_b32 s72, s22, 6
	.loc	1 79 51                         ; int8_utils_aot.py:79:51
	s_bfe_u32 s26, s74, 0x10007
	.loc	1 79 38                         ; int8_utils_aot.py:79:38
	s_or_b32 s7, s72, s26
	.loc	1 79 68                         ; int8_utils_aot.py:79:68
	v_rcp_iflag_f32_e32 v2, v2
	s_bfe_i32 s86, s22, 0x10019
	s_add_i32 s7, s7, s86
	s_xor_b32 s21, s7, s86
	v_mul_f32_e32 v2, 0x4f7ffffe, v2
	v_cvt_u32_f32_e32 v2, v2
	s_sub_i32 s7, 0, s78
	.loc	1 79 51                         ; int8_utils_aot.py:79:51
	s_or_b32 s27, s26, 2
	s_or_b32 s28, s26, 4
	.loc	1 79 68                         ; int8_utils_aot.py:79:68
	v_readfirstlane_b32 s22, v2
	s_mul_i32 s7, s7, s22
	s_mul_hi_u32 s7, s22, s7
	s_add_i32 s7, s22, s7
	s_mul_hi_u32 s22, s21, s7
	s_mul_i32 s22, s22, s78
	.loc	1 79 51                         ; int8_utils_aot.py:79:51
	s_or_b32 s29, s26, 6
	s_or_b32 s30, s26, 8
	.loc	1 79 68                         ; int8_utils_aot.py:79:68
	s_sub_i32 s21, s21, s22
	.loc	1 79 51                         ; int8_utils_aot.py:79:51
	s_or_b32 s31, s26, 10
	.loc	1 79 38                         ; int8_utils_aot.py:79:38
	s_or_b32 s16, s72, s27
	s_or_b32 s17, s72, s28
	;; [unrolled: 1-line block ×4, first 2 shown]
	.loc	1 79 68                         ; int8_utils_aot.py:79:68
	s_sub_i32 s22, s21, s78
	s_cmp_ge_u32 s21, s78
	s_cselect_b32 s21, s22, s21
	s_sub_i32 s22, s21, s78
	s_cmp_ge_u32 s21, s78
	s_cselect_b32 s21, s22, s21
	.loc	1 79 51                         ; int8_utils_aot.py:79:51
	v_and_b32_e32 v1, 63, v0
	.loc	1 79 68                         ; int8_utils_aot.py:79:68
	s_xor_b32 s21, s21, s86
	.loc	1 80 51 is_stmt 1               ; int8_utils_aot.py:80:51
	v_mov_b32_e32 v2, 0x7f
	.loc	1 79 68                         ; int8_utils_aot.py:79:68
	s_sub_i32 s21, s21, s86
	.loc	1 80 51                         ; int8_utils_aot.py:80:51
	v_bitop3_b32 v75, s76, v2, v1 bitop3:0xc8
	.loc	1 79 68                         ; int8_utils_aot.py:79:68
	s_abs_i32 s35, s16
	s_abs_i32 s36, s17
	;; [unrolled: 1-line block ×3, first 2 shown]
	.loc	1 82 37                         ; int8_utils_aot.py:82:37
	s_waitcnt lgkmcnt(0)
	s_mul_i32 s99, s21, s18
	.loc	1 82 67 is_stmt 0               ; int8_utils_aot.py:82:67
	v_mul_lo_u32 v4, v75, s19
.Ltmp10:
	.loc	2 43 17 is_stmt 1               ; standard.py:43:17 @[ int8_utils_aot.py:90:33 ]
	s_add_i32 s94, s14, 0x7f
.Ltmp11:
	.loc	1 82 49                         ; int8_utils_aot.py:82:49
	v_add_u32_e32 v2, s99, v4
	.loc	1 90 22                         ; int8_utils_aot.py:90:22
	s_cmpk_gt_i32 s94, 0x7f
	.loc	1 82 18                         ; int8_utils_aot.py:82:18
	v_ashrrev_i32_e32 v3, 31, v2
	.loc	1 90 22                         ; int8_utils_aot.py:90:22
	s_cselect_b64 s[16:17], -1, 0
	.loc	1 91 51                         ; int8_utils_aot.py:91:51
	v_cmp_gt_i32_e32 vcc, s14, v75
	.loc	1 79 68                         ; int8_utils_aot.py:79:68
	s_mul_hi_u32 s41, s35, s7
	s_mul_hi_u32 s40, s36, s7
	.loc	1 82 18                         ; int8_utils_aot.py:82:18
	v_lshl_add_u64 v[106:107], s[2:3], 0, v[2:3]
	.loc	1 90 22                         ; int8_utils_aot.py:90:22
	s_and_b64 s[22:23], s[16:17], vcc
	.loc	1 91 20                         ; int8_utils_aot.py:91:20
	s_and_saveexec_b64 s[20:21], s[22:23]
	s_cbranch_execz .LBB0_2
; %bb.1:
	global_load_ubyte v91, v[106:107], off
.LBB0_2:
	.loc	1 0 20 is_stmt 0                ; int8_utils_aot.py:0:20
	s_or_b64 exec, exec, s[20:21]
	.loc	1 79 68 is_stmt 1               ; int8_utils_aot.py:79:68
	s_mul_i32 s41, s41, s78
	s_sub_i32 s20, s35, s41
	.loc	1 0 0 is_stmt 0                 ; int8_utils_aot.py:0
	s_or_b32 s34, s26, 12
	s_or_b32 s42, s72, s31
	s_abs_i32 s38, s33
	.loc	1 79 68                         ; int8_utils_aot.py:79:68
	s_sub_i32 s21, s20, s78
	s_cmp_ge_u32 s20, s78
	s_cselect_b32 s20, s21, s20
	s_sub_i32 s21, s20, s78
	s_cmp_ge_u32 s20, s78
	s_cselect_b32 s20, s21, s20
	s_xor_b32 s20, s20, s86
	s_sub_i32 s20, s20, s86
	.loc	1 82 37 is_stmt 1               ; int8_utils_aot.py:82:37
	s_mul_i32 s20, s20, s18
	.loc	1 82 49 is_stmt 0               ; int8_utils_aot.py:82:49
	v_add_u32_e32 v2, s20, v4
	.loc	1 82 18                         ; int8_utils_aot.py:82:18
	v_ashrrev_i32_e32 v3, 31, v2
	.loc	1 0 0                           ; int8_utils_aot.py:0
	s_mul_hi_u32 s39, s37, s7
	v_writelane_b32 v255, s20, 2
	.loc	1 82 18                         ; int8_utils_aot.py:82:18
	v_lshl_add_u64 v[108:109], s[2:3], 0, v[2:3]
	.loc	1 91 20 is_stmt 1               ; int8_utils_aot.py:91:20
	s_and_saveexec_b64 s[20:21], s[22:23]
	s_cbranch_execz .LBB0_4
; %bb.3:
	global_load_ubyte v90, v[108:109], off
.LBB0_4:
	.loc	1 0 20 is_stmt 0                ; int8_utils_aot.py:0:20
	s_or_b64 exec, exec, s[20:21]
	.loc	1 79 68 is_stmt 1               ; int8_utils_aot.py:79:68
	s_mul_i32 s40, s40, s78
	s_sub_i32 s20, s36, s40
	.loc	1 0 0 is_stmt 0                 ; int8_utils_aot.py:0
	s_or_b32 s35, s26, 14
	s_or_b32 s41, s72, s34
	s_abs_i32 s33, s42
	.loc	1 79 68                         ; int8_utils_aot.py:79:68
	s_sub_i32 s21, s20, s78
	s_cmp_ge_u32 s20, s78
	s_cselect_b32 s20, s21, s20
	s_sub_i32 s21, s20, s78
	s_cmp_ge_u32 s20, s78
	s_cselect_b32 s20, s21, s20
	s_xor_b32 s20, s20, s86
	s_sub_i32 s20, s20, s86
	.loc	1 82 37 is_stmt 1               ; int8_utils_aot.py:82:37
	s_mul_i32 s20, s20, s18
	.loc	1 82 49 is_stmt 0               ; int8_utils_aot.py:82:49
	v_add_u32_e32 v2, s20, v4
	.loc	1 82 18                         ; int8_utils_aot.py:82:18
	v_ashrrev_i32_e32 v3, 31, v2
	.loc	1 0 0                           ; int8_utils_aot.py:0
	s_mul_hi_u32 s42, s38, s7
	v_writelane_b32 v255, s20, 3
	.loc	1 82 18                         ; int8_utils_aot.py:82:18
	v_lshl_add_u64 v[110:111], s[2:3], 0, v[2:3]
	v_mov_b32_e32 v92, 0
	v_mov_b32_e32 v95, 0
	.loc	1 91 20 is_stmt 1               ; int8_utils_aot.py:91:20
	s_and_saveexec_b64 s[20:21], s[22:23]
	s_cbranch_execz .LBB0_6
; %bb.5:
	global_load_ubyte v95, v[110:111], off
.LBB0_6:
	.loc	1 0 20 is_stmt 0                ; int8_utils_aot.py:0:20
	s_or_b64 exec, exec, s[20:21]
	.loc	1 79 68 is_stmt 1               ; int8_utils_aot.py:79:68
	s_mul_i32 s39, s39, s78
	s_sub_i32 s20, s37, s39
	.loc	1 0 0 is_stmt 0                 ; int8_utils_aot.py:0
	s_or_b32 s36, s26, 16
	s_or_b32 s44, s72, s35
	s_abs_i32 s40, s41
	.loc	1 79 68                         ; int8_utils_aot.py:79:68
	s_sub_i32 s21, s20, s78
	s_cmp_ge_u32 s20, s78
	s_cselect_b32 s20, s21, s20
	s_sub_i32 s21, s20, s78
	s_cmp_ge_u32 s20, s78
	s_cselect_b32 s20, s21, s20
	s_xor_b32 s20, s20, s86
	s_sub_i32 s20, s20, s86
	.loc	1 82 37 is_stmt 1               ; int8_utils_aot.py:82:37
	s_mul_i32 s20, s20, s18
	.loc	1 82 49 is_stmt 0               ; int8_utils_aot.py:82:49
	v_add_u32_e32 v2, s20, v4
	.loc	1 82 18                         ; int8_utils_aot.py:82:18
	v_ashrrev_i32_e32 v3, 31, v2
	.loc	1 0 0                           ; int8_utils_aot.py:0
	s_mul_hi_u32 s43, s33, s7
	v_writelane_b32 v255, s20, 4
	.loc	1 82 18                         ; int8_utils_aot.py:82:18
	v_lshl_add_u64 v[112:113], s[2:3], 0, v[2:3]
	.loc	1 91 20 is_stmt 1               ; int8_utils_aot.py:91:20
	s_and_saveexec_b64 s[20:21], s[22:23]
	s_cbranch_execz .LBB0_8
; %bb.7:
	global_load_ubyte v92, v[112:113], off
.LBB0_8:
	.loc	1 0 20 is_stmt 0                ; int8_utils_aot.py:0:20
	s_or_b64 exec, exec, s[20:21]
	.loc	1 79 68 is_stmt 1               ; int8_utils_aot.py:79:68
	s_mul_i32 s42, s42, s78
	s_sub_i32 s20, s38, s42
	.loc	1 0 0 is_stmt 0                 ; int8_utils_aot.py:0
	s_or_b32 s37, s26, 18
	s_or_b32 s39, s72, s36
	s_abs_i32 s41, s44
	.loc	1 79 68                         ; int8_utils_aot.py:79:68
	s_sub_i32 s21, s20, s78
	s_cmp_ge_u32 s20, s78
	s_cselect_b32 s20, s21, s20
	s_sub_i32 s21, s20, s78
	s_cmp_ge_u32 s20, s78
	s_cselect_b32 s20, s21, s20
	s_xor_b32 s20, s20, s86
	s_sub_i32 s20, s20, s86
	.loc	1 82 37 is_stmt 1               ; int8_utils_aot.py:82:37
	s_mul_i32 s20, s20, s18
	.loc	1 82 49 is_stmt 0               ; int8_utils_aot.py:82:49
	v_add_u32_e32 v2, s20, v4
	.loc	1 82 18                         ; int8_utils_aot.py:82:18
	v_ashrrev_i32_e32 v3, 31, v2
	.loc	1 0 0                           ; int8_utils_aot.py:0
	s_mul_hi_u32 s44, s40, s7
	v_writelane_b32 v255, s20, 5
	.loc	1 82 18                         ; int8_utils_aot.py:82:18
	v_lshl_add_u64 v[8:9], s[2:3], 0, v[2:3]
	v_mov_b32_e32 v98, 0
	v_mov_b32_e32 v97, 0
	.loc	1 91 20 is_stmt 1               ; int8_utils_aot.py:91:20
	s_and_saveexec_b64 s[20:21], s[22:23]
	s_cbranch_execz .LBB0_10
; %bb.9:
	global_load_ubyte v97, v[8:9], off
.LBB0_10:
	.loc	1 0 20 is_stmt 0                ; int8_utils_aot.py:0:20
	s_or_b64 exec, exec, s[20:21]
	.loc	1 79 68 is_stmt 1               ; int8_utils_aot.py:79:68
	s_mul_i32 s43, s43, s78
	s_sub_i32 s20, s33, s43
	.loc	1 0 0 is_stmt 0                 ; int8_utils_aot.py:0
	s_or_b32 s38, s26, 20
	s_or_b32 s47, s72, s37
	s_abs_i32 s42, s39
	.loc	1 79 68                         ; int8_utils_aot.py:79:68
	s_sub_i32 s21, s20, s78
	s_cmp_ge_u32 s20, s78
	s_cselect_b32 s20, s21, s20
	s_sub_i32 s21, s20, s78
	s_cmp_ge_u32 s20, s78
	s_cselect_b32 s20, s21, s20
	s_xor_b32 s20, s20, s86
	s_sub_i32 s20, s20, s86
	.loc	1 82 37 is_stmt 1               ; int8_utils_aot.py:82:37
	s_mul_i32 s20, s20, s18
	.loc	1 82 49 is_stmt 0               ; int8_utils_aot.py:82:49
	v_add_u32_e32 v2, s20, v4
	.loc	1 82 18                         ; int8_utils_aot.py:82:18
	v_ashrrev_i32_e32 v3, 31, v2
	.loc	1 0 0                           ; int8_utils_aot.py:0
	s_mul_hi_u32 s45, s41, s7
	v_writelane_b32 v255, s20, 6
	.loc	1 82 18                         ; int8_utils_aot.py:82:18
	v_lshl_add_u64 v[10:11], s[2:3], 0, v[2:3]
	.loc	1 91 20 is_stmt 1               ; int8_utils_aot.py:91:20
	s_and_saveexec_b64 s[20:21], s[22:23]
	s_cbranch_execz .LBB0_12
; %bb.11:
	global_load_ubyte v98, v[10:11], off
.LBB0_12:
	.loc	1 0 20 is_stmt 0                ; int8_utils_aot.py:0:20
	s_or_b64 exec, exec, s[20:21]
	.loc	1 79 68 is_stmt 1               ; int8_utils_aot.py:79:68
	s_mul_i32 s44, s44, s78
	s_sub_i32 s20, s40, s44
	.loc	1 0 0 is_stmt 0                 ; int8_utils_aot.py:0
	s_or_b32 s39, s26, 22
	s_or_b32 s46, s72, s38
	s_abs_i32 s33, s47
	.loc	1 79 68                         ; int8_utils_aot.py:79:68
	s_sub_i32 s21, s20, s78
	s_cmp_ge_u32 s20, s78
	s_cselect_b32 s20, s21, s20
	s_sub_i32 s21, s20, s78
	s_cmp_ge_u32 s20, s78
	s_cselect_b32 s20, s21, s20
	s_xor_b32 s20, s20, s86
	s_sub_i32 s20, s20, s86
	.loc	1 82 37 is_stmt 1               ; int8_utils_aot.py:82:37
	s_mul_i32 s20, s20, s18
	.loc	1 82 49 is_stmt 0               ; int8_utils_aot.py:82:49
	v_add_u32_e32 v2, s20, v4
	.loc	1 82 18                         ; int8_utils_aot.py:82:18
	v_ashrrev_i32_e32 v3, 31, v2
	.loc	1 0 0                           ; int8_utils_aot.py:0
	s_mul_hi_u32 s43, s42, s7
	v_writelane_b32 v255, s20, 7
	.loc	1 82 18                         ; int8_utils_aot.py:82:18
	v_lshl_add_u64 v[12:13], s[2:3], 0, v[2:3]
	v_mov_b32_e32 v100, 0
	v_mov_b32_e32 v99, 0
	.loc	1 91 20 is_stmt 1               ; int8_utils_aot.py:91:20
	s_and_saveexec_b64 s[20:21], s[22:23]
	s_cbranch_execz .LBB0_14
; %bb.13:
	global_load_ubyte v99, v[12:13], off
.LBB0_14:
	.loc	1 0 20 is_stmt 0                ; int8_utils_aot.py:0:20
	s_or_b64 exec, exec, s[20:21]
	.loc	1 79 68 is_stmt 1               ; int8_utils_aot.py:79:68
	s_mul_i32 s45, s45, s78
	s_sub_i32 s20, s41, s45
	.loc	1 0 0 is_stmt 0                 ; int8_utils_aot.py:0
	s_or_b32 s40, s26, 24
	s_or_b32 s48, s72, s39
	s_abs_i32 s44, s46
	.loc	1 79 68                         ; int8_utils_aot.py:79:68
	s_sub_i32 s21, s20, s78
	s_cmp_ge_u32 s20, s78
	s_cselect_b32 s20, s21, s20
	s_sub_i32 s21, s20, s78
	s_cmp_ge_u32 s20, s78
	s_cselect_b32 s20, s21, s20
	s_xor_b32 s20, s20, s86
	s_sub_i32 s20, s20, s86
	.loc	1 82 37 is_stmt 1               ; int8_utils_aot.py:82:37
	s_mul_i32 s20, s20, s18
	.loc	1 82 49 is_stmt 0               ; int8_utils_aot.py:82:49
	v_add_u32_e32 v2, s20, v4
	.loc	1 82 18                         ; int8_utils_aot.py:82:18
	v_ashrrev_i32_e32 v3, 31, v2
	.loc	1 0 0                           ; int8_utils_aot.py:0
	s_mul_hi_u32 s47, s33, s7
	v_writelane_b32 v255, s20, 8
	.loc	1 82 18                         ; int8_utils_aot.py:82:18
	v_lshl_add_u64 v[14:15], s[2:3], 0, v[2:3]
	.loc	1 91 20 is_stmt 1               ; int8_utils_aot.py:91:20
	s_and_saveexec_b64 s[20:21], s[22:23]
	s_cbranch_execz .LBB0_16
; %bb.15:
	global_load_ubyte v100, v[14:15], off
.LBB0_16:
	.loc	1 0 20 is_stmt 0                ; int8_utils_aot.py:0:20
	s_or_b64 exec, exec, s[20:21]
	.loc	1 79 68 is_stmt 1               ; int8_utils_aot.py:79:68
	s_mul_i32 s43, s43, s78
	s_sub_i32 s20, s42, s43
	.loc	1 0 0 is_stmt 0                 ; int8_utils_aot.py:0
	s_or_b32 s41, s26, 26
	s_or_b32 s46, s72, s40
	s_abs_i32 s45, s48
	.loc	1 79 68                         ; int8_utils_aot.py:79:68
	s_sub_i32 s21, s20, s78
	s_cmp_ge_u32 s20, s78
	s_cselect_b32 s20, s21, s20
	s_sub_i32 s21, s20, s78
	s_cmp_ge_u32 s20, s78
	s_cselect_b32 s20, s21, s20
	s_xor_b32 s20, s20, s86
	s_sub_i32 s20, s20, s86
	.loc	1 82 37 is_stmt 1               ; int8_utils_aot.py:82:37
	s_mul_i32 s20, s20, s18
	.loc	1 82 49 is_stmt 0               ; int8_utils_aot.py:82:49
	v_add_u32_e32 v2, s20, v4
	.loc	1 82 18                         ; int8_utils_aot.py:82:18
	v_ashrrev_i32_e32 v3, 31, v2
	.loc	1 0 0                           ; int8_utils_aot.py:0
	s_mul_hi_u32 s48, s44, s7
	v_writelane_b32 v255, s20, 9
	.loc	1 82 18                         ; int8_utils_aot.py:82:18
	v_lshl_add_u64 v[16:17], s[2:3], 0, v[2:3]
	v_mov_b32_e32 v94, 0
	v_mov_b32_e32 v96, 0
	.loc	1 91 20 is_stmt 1               ; int8_utils_aot.py:91:20
	s_and_saveexec_b64 s[20:21], s[22:23]
	s_cbranch_execz .LBB0_18
; %bb.17:
	global_load_ubyte v96, v[16:17], off
.LBB0_18:
	.loc	1 0 20 is_stmt 0                ; int8_utils_aot.py:0:20
	s_or_b64 exec, exec, s[20:21]
	.loc	1 79 68 is_stmt 1               ; int8_utils_aot.py:79:68
	s_mul_i32 s47, s47, s78
	s_sub_i32 s20, s33, s47
	.loc	1 0 0 is_stmt 0                 ; int8_utils_aot.py:0
	s_or_b32 s42, s26, 28
	s_or_b32 s51, s72, s41
	s_abs_i32 s46, s46
	.loc	1 79 68                         ; int8_utils_aot.py:79:68
	s_sub_i32 s21, s20, s78
	s_cmp_ge_u32 s20, s78
	s_cselect_b32 s20, s21, s20
	s_sub_i32 s21, s20, s78
	s_cmp_ge_u32 s20, s78
	s_cselect_b32 s20, s21, s20
	s_xor_b32 s20, s20, s86
	s_sub_i32 s20, s20, s86
	.loc	1 82 37 is_stmt 1               ; int8_utils_aot.py:82:37
	s_mul_i32 s20, s20, s18
	.loc	1 82 49 is_stmt 0               ; int8_utils_aot.py:82:49
	v_add_u32_e32 v2, s20, v4
	.loc	1 82 18                         ; int8_utils_aot.py:82:18
	v_ashrrev_i32_e32 v3, 31, v2
	.loc	1 0 0                           ; int8_utils_aot.py:0
	s_mul_hi_u32 s49, s45, s7
	v_writelane_b32 v255, s20, 10
	.loc	1 82 18                         ; int8_utils_aot.py:82:18
	v_lshl_add_u64 v[18:19], s[2:3], 0, v[2:3]
	.loc	1 91 20 is_stmt 1               ; int8_utils_aot.py:91:20
	s_and_saveexec_b64 s[20:21], s[22:23]
	s_cbranch_execz .LBB0_20
; %bb.19:
	global_load_ubyte v94, v[18:19], off
.LBB0_20:
	.loc	1 0 20 is_stmt 0                ; int8_utils_aot.py:0:20
	s_or_b64 exec, exec, s[20:21]
	.loc	1 79 68 is_stmt 1               ; int8_utils_aot.py:79:68
	s_mul_i32 s48, s48, s78
	s_sub_i32 s20, s44, s48
	.loc	1 0 0 is_stmt 0                 ; int8_utils_aot.py:0
	s_or_b32 s43, s26, 30
	s_or_b32 s50, s72, s42
	s_abs_i32 s33, s51
	.loc	1 79 68                         ; int8_utils_aot.py:79:68
	s_sub_i32 s21, s20, s78
	s_cmp_ge_u32 s20, s78
	s_cselect_b32 s20, s21, s20
	s_sub_i32 s21, s20, s78
	s_cmp_ge_u32 s20, s78
	s_cselect_b32 s20, s21, s20
	s_xor_b32 s20, s20, s86
	s_sub_i32 s20, s20, s86
	.loc	1 82 37 is_stmt 1               ; int8_utils_aot.py:82:37
	s_mul_i32 s20, s20, s18
	.loc	1 82 49 is_stmt 0               ; int8_utils_aot.py:82:49
	v_add_u32_e32 v2, s20, v4
	.loc	1 82 18                         ; int8_utils_aot.py:82:18
	v_ashrrev_i32_e32 v3, 31, v2
	.loc	1 0 0                           ; int8_utils_aot.py:0
	s_mul_hi_u32 s47, s46, s7
	v_writelane_b32 v255, s20, 11
	.loc	1 82 18                         ; int8_utils_aot.py:82:18
	v_lshl_add_u64 v[22:23], s[2:3], 0, v[2:3]
	v_mov_b32_e32 v101, 0
	v_mov_b32_e32 v102, 0
	.loc	1 91 20 is_stmt 1               ; int8_utils_aot.py:91:20
	s_and_saveexec_b64 s[20:21], s[22:23]
	s_cbranch_execz .LBB0_22
; %bb.21:
	global_load_ubyte v102, v[22:23], off
.LBB0_22:
	.loc	1 0 20 is_stmt 0                ; int8_utils_aot.py:0:20
	s_or_b64 exec, exec, s[20:21]
	.loc	1 79 68 is_stmt 1               ; int8_utils_aot.py:79:68
	s_mul_i32 s49, s49, s78
	s_sub_i32 s20, s45, s49
	.loc	1 0 0 is_stmt 0                 ; int8_utils_aot.py:0
	s_or_b32 s44, s26, 32
	s_or_b32 s52, s72, s43
	s_abs_i32 s48, s50
	.loc	1 79 68                         ; int8_utils_aot.py:79:68
	s_sub_i32 s21, s20, s78
	s_cmp_ge_u32 s20, s78
	s_cselect_b32 s20, s21, s20
	s_sub_i32 s21, s20, s78
	s_cmp_ge_u32 s20, s78
	s_cselect_b32 s20, s21, s20
	s_xor_b32 s20, s20, s86
	s_sub_i32 s20, s20, s86
	.loc	1 82 37 is_stmt 1               ; int8_utils_aot.py:82:37
	s_mul_i32 s20, s20, s18
	.loc	1 82 49 is_stmt 0               ; int8_utils_aot.py:82:49
	v_add_u32_e32 v2, s20, v4
	.loc	1 82 18                         ; int8_utils_aot.py:82:18
	v_ashrrev_i32_e32 v3, 31, v2
	.loc	1 0 0                           ; int8_utils_aot.py:0
	s_mul_hi_u32 s51, s33, s7
	v_writelane_b32 v255, s20, 12
	.loc	1 82 18                         ; int8_utils_aot.py:82:18
	v_lshl_add_u64 v[24:25], s[2:3], 0, v[2:3]
	.loc	1 91 20 is_stmt 1               ; int8_utils_aot.py:91:20
	s_and_saveexec_b64 s[20:21], s[22:23]
	s_cbranch_execz .LBB0_24
; %bb.23:
	global_load_ubyte v101, v[24:25], off
.LBB0_24:
	.loc	1 0 20 is_stmt 0                ; int8_utils_aot.py:0:20
	s_or_b64 exec, exec, s[20:21]
	.loc	1 79 68 is_stmt 1               ; int8_utils_aot.py:79:68
	s_mul_i32 s47, s47, s78
	s_sub_i32 s20, s46, s47
	.loc	1 0 0 is_stmt 0                 ; int8_utils_aot.py:0
	s_or_b32 s45, s26, 34
	s_or_b32 s50, s72, s44
	s_abs_i32 s49, s52
	.loc	1 79 68                         ; int8_utils_aot.py:79:68
	s_sub_i32 s21, s20, s78
	s_cmp_ge_u32 s20, s78
	s_cselect_b32 s20, s21, s20
	s_sub_i32 s21, s20, s78
	s_cmp_ge_u32 s20, s78
	s_cselect_b32 s20, s21, s20
	s_xor_b32 s20, s20, s86
	s_sub_i32 s20, s20, s86
	.loc	1 82 37 is_stmt 1               ; int8_utils_aot.py:82:37
	s_mul_i32 s20, s20, s18
	.loc	1 82 49 is_stmt 0               ; int8_utils_aot.py:82:49
	v_add_u32_e32 v2, s20, v4
	.loc	1 82 18                         ; int8_utils_aot.py:82:18
	v_ashrrev_i32_e32 v3, 31, v2
	.loc	1 0 0                           ; int8_utils_aot.py:0
	s_mul_hi_u32 s52, s48, s7
	v_writelane_b32 v255, s20, 13
	.loc	1 82 18                         ; int8_utils_aot.py:82:18
	v_lshl_add_u64 v[26:27], s[2:3], 0, v[2:3]
	v_mov_b32_e32 v103, 0
	v_mov_b32_e32 v104, 0
	.loc	1 91 20 is_stmt 1               ; int8_utils_aot.py:91:20
	s_and_saveexec_b64 s[20:21], s[22:23]
	s_cbranch_execz .LBB0_26
; %bb.25:
	global_load_ubyte v104, v[26:27], off
.LBB0_26:
	.loc	1 0 20 is_stmt 0                ; int8_utils_aot.py:0:20
	s_or_b64 exec, exec, s[20:21]
	.loc	1 79 68 is_stmt 1               ; int8_utils_aot.py:79:68
	s_mul_i32 s51, s51, s78
	s_sub_i32 s20, s33, s51
	.loc	1 0 0 is_stmt 0                 ; int8_utils_aot.py:0
	s_or_b32 s46, s26, 36
	s_or_b32 s55, s72, s45
	s_abs_i32 s50, s50
	.loc	1 79 68                         ; int8_utils_aot.py:79:68
	s_sub_i32 s21, s20, s78
	s_cmp_ge_u32 s20, s78
	s_cselect_b32 s20, s21, s20
	s_sub_i32 s21, s20, s78
	s_cmp_ge_u32 s20, s78
	s_cselect_b32 s20, s21, s20
	s_xor_b32 s20, s20, s86
	s_sub_i32 s20, s20, s86
	.loc	1 82 37 is_stmt 1               ; int8_utils_aot.py:82:37
	s_mul_i32 s20, s20, s18
	.loc	1 82 49 is_stmt 0               ; int8_utils_aot.py:82:49
	v_add_u32_e32 v2, s20, v4
	.loc	1 82 18                         ; int8_utils_aot.py:82:18
	v_ashrrev_i32_e32 v3, 31, v2
	.loc	1 0 0                           ; int8_utils_aot.py:0
	s_mul_hi_u32 s53, s49, s7
	v_writelane_b32 v255, s20, 14
	.loc	1 82 18                         ; int8_utils_aot.py:82:18
	v_lshl_add_u64 v[28:29], s[2:3], 0, v[2:3]
	.loc	1 91 20 is_stmt 1               ; int8_utils_aot.py:91:20
	s_and_saveexec_b64 s[20:21], s[22:23]
	s_cbranch_execz .LBB0_28
; %bb.27:
	global_load_ubyte v103, v[28:29], off
.LBB0_28:
	.loc	1 0 20 is_stmt 0                ; int8_utils_aot.py:0:20
	s_or_b64 exec, exec, s[20:21]
	.loc	1 79 68 is_stmt 1               ; int8_utils_aot.py:79:68
	s_mul_i32 s52, s52, s78
	s_sub_i32 s20, s48, s52
	.loc	1 0 0 is_stmt 0                 ; int8_utils_aot.py:0
	s_or_b32 s47, s26, 38
	s_or_b32 s54, s72, s46
	s_abs_i32 s33, s55
	.loc	1 79 68                         ; int8_utils_aot.py:79:68
	s_sub_i32 s21, s20, s78
	s_cmp_ge_u32 s20, s78
	s_cselect_b32 s20, s21, s20
	s_sub_i32 s21, s20, s78
	s_cmp_ge_u32 s20, s78
	s_cselect_b32 s20, s21, s20
	s_xor_b32 s20, s20, s86
	s_sub_i32 s20, s20, s86
	.loc	1 82 37 is_stmt 1               ; int8_utils_aot.py:82:37
	s_mul_i32 s20, s20, s18
	.loc	1 82 49 is_stmt 0               ; int8_utils_aot.py:82:49
	v_add_u32_e32 v2, s20, v4
	.loc	1 82 18                         ; int8_utils_aot.py:82:18
	v_ashrrev_i32_e32 v3, 31, v2
	.loc	1 0 0                           ; int8_utils_aot.py:0
	s_mul_hi_u32 s51, s50, s7
	v_writelane_b32 v255, s20, 15
	.loc	1 82 18                         ; int8_utils_aot.py:82:18
	v_lshl_add_u64 v[30:31], s[2:3], 0, v[2:3]
	v_mov_b32_e32 v105, 0
	v_mov_b32_e32 v162, 0
	.loc	1 91 20 is_stmt 1               ; int8_utils_aot.py:91:20
	s_and_saveexec_b64 s[20:21], s[22:23]
	s_cbranch_execz .LBB0_30
; %bb.29:
	global_load_ubyte v162, v[30:31], off
.LBB0_30:
	.loc	1 0 20 is_stmt 0                ; int8_utils_aot.py:0:20
	s_or_b64 exec, exec, s[20:21]
	.loc	1 79 68 is_stmt 1               ; int8_utils_aot.py:79:68
	s_mul_i32 s53, s53, s78
	s_sub_i32 s20, s49, s53
	.loc	1 0 0 is_stmt 0                 ; int8_utils_aot.py:0
	s_or_b32 s48, s26, 40
	s_or_b32 s56, s72, s47
	s_abs_i32 s52, s54
	.loc	1 79 68                         ; int8_utils_aot.py:79:68
	s_sub_i32 s21, s20, s78
	s_cmp_ge_u32 s20, s78
	s_cselect_b32 s20, s21, s20
	s_sub_i32 s21, s20, s78
	s_cmp_ge_u32 s20, s78
	s_cselect_b32 s20, s21, s20
	s_xor_b32 s20, s20, s86
	s_sub_i32 s20, s20, s86
	.loc	1 82 37 is_stmt 1               ; int8_utils_aot.py:82:37
	s_mul_i32 s20, s20, s18
	.loc	1 82 49 is_stmt 0               ; int8_utils_aot.py:82:49
	v_add_u32_e32 v2, s20, v4
	.loc	1 82 18                         ; int8_utils_aot.py:82:18
	v_ashrrev_i32_e32 v3, 31, v2
	.loc	1 0 0                           ; int8_utils_aot.py:0
	s_mul_hi_u32 s55, s33, s7
	v_writelane_b32 v255, s20, 16
	.loc	1 82 18                         ; int8_utils_aot.py:82:18
	v_lshl_add_u64 v[32:33], s[2:3], 0, v[2:3]
	.loc	1 91 20 is_stmt 1               ; int8_utils_aot.py:91:20
	s_and_saveexec_b64 s[20:21], s[22:23]
	s_cbranch_execz .LBB0_32
; %bb.31:
	global_load_ubyte v105, v[32:33], off
.LBB0_32:
	.loc	1 0 20 is_stmt 0                ; int8_utils_aot.py:0:20
	s_or_b64 exec, exec, s[20:21]
	.loc	1 79 68 is_stmt 1               ; int8_utils_aot.py:79:68
	s_mul_i32 s51, s51, s78
	s_sub_i32 s20, s50, s51
	.loc	1 0 0 is_stmt 0                 ; int8_utils_aot.py:0
	s_or_b32 s49, s26, 42
	s_or_b32 s54, s72, s48
	s_abs_i32 s53, s56
	.loc	1 79 68                         ; int8_utils_aot.py:79:68
	s_sub_i32 s21, s20, s78
	s_cmp_ge_u32 s20, s78
	s_cselect_b32 s20, s21, s20
	s_sub_i32 s21, s20, s78
	s_cmp_ge_u32 s20, s78
	s_cselect_b32 s20, s21, s20
	s_xor_b32 s20, s20, s86
	s_sub_i32 s20, s20, s86
	.loc	1 82 37 is_stmt 1               ; int8_utils_aot.py:82:37
	s_mul_i32 s20, s20, s18
	.loc	1 82 49 is_stmt 0               ; int8_utils_aot.py:82:49
	v_add_u32_e32 v2, s20, v4
	.loc	1 82 18                         ; int8_utils_aot.py:82:18
	v_ashrrev_i32_e32 v3, 31, v2
	.loc	1 0 0                           ; int8_utils_aot.py:0
	s_mul_hi_u32 s56, s52, s7
	v_writelane_b32 v255, s20, 17
	.loc	1 82 18                         ; int8_utils_aot.py:82:18
	v_lshl_add_u64 v[46:47], s[2:3], 0, v[2:3]
	v_mov_b32_e32 v163, 0
	v_mov_b32_e32 v164, 0
	.loc	1 91 20 is_stmt 1               ; int8_utils_aot.py:91:20
	s_and_saveexec_b64 s[20:21], s[22:23]
	s_cbranch_execz .LBB0_34
; %bb.33:
	global_load_ubyte v164, v[46:47], off
.LBB0_34:
	.loc	1 0 20 is_stmt 0                ; int8_utils_aot.py:0:20
	s_or_b64 exec, exec, s[20:21]
	.loc	1 79 68 is_stmt 1               ; int8_utils_aot.py:79:68
	s_mul_i32 s55, s55, s78
	s_sub_i32 s20, s33, s55
	.loc	1 0 0 is_stmt 0                 ; int8_utils_aot.py:0
	s_or_b32 s50, s26, 44
	s_or_b32 s58, s72, s49
	s_abs_i32 s54, s54
	.loc	1 79 68                         ; int8_utils_aot.py:79:68
	s_sub_i32 s21, s20, s78
	s_cmp_ge_u32 s20, s78
	s_cselect_b32 s20, s21, s20
	s_sub_i32 s21, s20, s78
	s_cmp_ge_u32 s20, s78
	s_cselect_b32 s20, s21, s20
	s_xor_b32 s20, s20, s86
	s_sub_i32 s20, s20, s86
	.loc	1 82 37 is_stmt 1               ; int8_utils_aot.py:82:37
	s_mul_i32 s20, s20, s18
	.loc	1 82 49 is_stmt 0               ; int8_utils_aot.py:82:49
	v_add_u32_e32 v2, s20, v4
	.loc	1 82 18                         ; int8_utils_aot.py:82:18
	v_ashrrev_i32_e32 v3, 31, v2
	.loc	1 0 0                           ; int8_utils_aot.py:0
	s_mul_hi_u32 s57, s53, s7
	v_writelane_b32 v255, s20, 18
	.loc	1 82 18                         ; int8_utils_aot.py:82:18
	v_lshl_add_u64 v[48:49], s[2:3], 0, v[2:3]
	.loc	1 91 20 is_stmt 1               ; int8_utils_aot.py:91:20
	s_and_saveexec_b64 s[20:21], s[22:23]
	s_cbranch_execz .LBB0_36
; %bb.35:
	global_load_ubyte v163, v[48:49], off
.LBB0_36:
	.loc	1 0 20 is_stmt 0                ; int8_utils_aot.py:0:20
	s_or_b64 exec, exec, s[20:21]
	.loc	1 79 68 is_stmt 1               ; int8_utils_aot.py:79:68
	s_mul_i32 s56, s56, s78
	s_sub_i32 s20, s52, s56
	.loc	1 0 0 is_stmt 0                 ; int8_utils_aot.py:0
	s_or_b32 s51, s26, 46
	s_or_b32 s33, s72, s50
	s_abs_i32 s55, s58
	.loc	1 79 68                         ; int8_utils_aot.py:79:68
	s_sub_i32 s21, s20, s78
	s_cmp_ge_u32 s20, s78
	s_cselect_b32 s20, s21, s20
	s_sub_i32 s21, s20, s78
	s_cmp_ge_u32 s20, s78
	s_cselect_b32 s20, s21, s20
	s_xor_b32 s20, s20, s86
	s_sub_i32 s20, s20, s86
	.loc	1 82 37 is_stmt 1               ; int8_utils_aot.py:82:37
	s_mul_i32 s20, s20, s18
	.loc	1 82 49 is_stmt 0               ; int8_utils_aot.py:82:49
	v_add_u32_e32 v2, s20, v4
	.loc	1 82 18                         ; int8_utils_aot.py:82:18
	v_ashrrev_i32_e32 v3, 31, v2
	.loc	1 0 0                           ; int8_utils_aot.py:0
	s_mul_hi_u32 s58, s54, s7
	v_writelane_b32 v255, s20, 19
	.loc	1 82 18                         ; int8_utils_aot.py:82:18
	v_lshl_add_u64 v[50:51], s[2:3], 0, v[2:3]
	v_mov_b32_e32 v165, 0
	v_mov_b32_e32 v166, 0
	.loc	1 91 20 is_stmt 1               ; int8_utils_aot.py:91:20
	s_and_saveexec_b64 s[20:21], s[22:23]
	s_cbranch_execz .LBB0_38
; %bb.37:
	global_load_ubyte v166, v[50:51], off
.LBB0_38:
	.loc	1 0 20 is_stmt 0                ; int8_utils_aot.py:0:20
	s_or_b64 exec, exec, s[20:21]
	.loc	1 79 68 is_stmt 1               ; int8_utils_aot.py:79:68
	s_mul_i32 s57, s57, s78
	s_sub_i32 s20, s53, s57
	.loc	1 0 0 is_stmt 0                 ; int8_utils_aot.py:0
	s_or_b32 s52, s26, 48
	s_or_b32 s61, s72, s51
	s_abs_i32 s56, s33
	.loc	1 79 68                         ; int8_utils_aot.py:79:68
	s_sub_i32 s21, s20, s78
	s_cmp_ge_u32 s20, s78
	s_cselect_b32 s20, s21, s20
	s_sub_i32 s21, s20, s78
	s_cmp_ge_u32 s20, s78
	s_cselect_b32 s20, s21, s20
	s_xor_b32 s20, s20, s86
	s_sub_i32 s20, s20, s86
	.loc	1 82 37 is_stmt 1               ; int8_utils_aot.py:82:37
	s_mul_i32 s20, s20, s18
	.loc	1 82 49 is_stmt 0               ; int8_utils_aot.py:82:49
	v_add_u32_e32 v2, s20, v4
	.loc	1 82 18                         ; int8_utils_aot.py:82:18
	v_ashrrev_i32_e32 v3, 31, v2
	.loc	1 0 0                           ; int8_utils_aot.py:0
	s_mul_hi_u32 s59, s55, s7
	v_writelane_b32 v255, s20, 20
	.loc	1 82 18                         ; int8_utils_aot.py:82:18
	v_lshl_add_u64 v[52:53], s[2:3], 0, v[2:3]
	.loc	1 91 20 is_stmt 1               ; int8_utils_aot.py:91:20
	s_and_saveexec_b64 s[20:21], s[22:23]
	s_cbranch_execz .LBB0_40
; %bb.39:
	global_load_ubyte v165, v[52:53], off
.LBB0_40:
	.loc	1 0 20 is_stmt 0                ; int8_utils_aot.py:0:20
	s_or_b64 exec, exec, s[20:21]
	.loc	1 79 68 is_stmt 1               ; int8_utils_aot.py:79:68
	s_mul_i32 s58, s58, s78
	s_sub_i32 s20, s54, s58
	.loc	1 0 0 is_stmt 0                 ; int8_utils_aot.py:0
	s_or_b32 s53, s26, 50
	s_or_b32 s60, s72, s52
	s_abs_i32 s33, s61
	.loc	1 79 68                         ; int8_utils_aot.py:79:68
	s_sub_i32 s21, s20, s78
	s_cmp_ge_u32 s20, s78
	s_cselect_b32 s20, s21, s20
	s_sub_i32 s21, s20, s78
	s_cmp_ge_u32 s20, s78
	s_cselect_b32 s20, s21, s20
	s_xor_b32 s20, s20, s86
	s_sub_i32 s20, s20, s86
	.loc	1 82 37 is_stmt 1               ; int8_utils_aot.py:82:37
	s_mul_i32 s20, s20, s18
	.loc	1 82 49 is_stmt 0               ; int8_utils_aot.py:82:49
	v_add_u32_e32 v2, s20, v4
	.loc	1 82 18                         ; int8_utils_aot.py:82:18
	v_ashrrev_i32_e32 v3, 31, v2
	.loc	1 0 0                           ; int8_utils_aot.py:0
	s_mul_hi_u32 s57, s56, s7
	v_writelane_b32 v255, s20, 21
	.loc	1 82 18                         ; int8_utils_aot.py:82:18
	v_lshl_add_u64 v[36:37], s[2:3], 0, v[2:3]
	v_mov_b32_e32 v167, 0
	v_mov_b32_e32 v168, 0
	.loc	1 91 20 is_stmt 1               ; int8_utils_aot.py:91:20
	s_and_saveexec_b64 s[20:21], s[22:23]
	s_cbranch_execz .LBB0_42
; %bb.41:
	global_load_ubyte v168, v[36:37], off
.LBB0_42:
	.loc	1 0 20 is_stmt 0                ; int8_utils_aot.py:0:20
	s_or_b64 exec, exec, s[20:21]
	.loc	1 79 68 is_stmt 1               ; int8_utils_aot.py:79:68
	s_mul_i32 s59, s59, s78
	s_sub_i32 s20, s55, s59
	s_xor_b32 s61, s25, s24
	s_abs_i32 s81, s13
	.loc	1 0 0 is_stmt 0                 ; int8_utils_aot.py:0
	s_or_b32 s54, s26, 52
	s_or_b32 s24, s72, s53
	s_abs_i32 s58, s60
	.loc	1 79 68                         ; int8_utils_aot.py:79:68
	s_sub_i32 s21, s20, s78
	s_cmp_ge_u32 s20, s78
	s_cselect_b32 s20, s21, s20
	s_sub_i32 s21, s20, s78
	s_cmp_ge_u32 s20, s78
	s_cselect_b32 s20, s21, s20
	s_xor_b32 s20, s20, s86
	s_sub_i32 s20, s20, s86
	.loc	1 82 37 is_stmt 1               ; int8_utils_aot.py:82:37
	s_mul_i32 s20, s20, s18
	.loc	1 82 49 is_stmt 0               ; int8_utils_aot.py:82:49
	v_add_u32_e32 v2, s20, v4
	.loc	1 82 18                         ; int8_utils_aot.py:82:18
	v_ashrrev_i32_e32 v3, 31, v2
	.loc	1 0 0                           ; int8_utils_aot.py:0
	s_mul_hi_u32 s25, s33, s7
	v_writelane_b32 v255, s20, 22
	.loc	1 82 18                         ; int8_utils_aot.py:82:18
	v_lshl_add_u64 v[38:39], s[2:3], 0, v[2:3]
	.loc	1 91 20 is_stmt 1               ; int8_utils_aot.py:91:20
	s_and_saveexec_b64 s[20:21], s[22:23]
	s_cbranch_execz .LBB0_44
; %bb.43:
	global_load_ubyte v167, v[38:39], off
.LBB0_44:
	.loc	1 0 20 is_stmt 0                ; int8_utils_aot.py:0:20
	s_or_b64 exec, exec, s[20:21]
	.loc	1 79 68 is_stmt 1               ; int8_utils_aot.py:79:68
	s_mul_i32 s57, s57, s78
	s_sub_i32 s20, s56, s57
	s_ashr_i32 s61, s61, 31
	.loc	1 0 0 is_stmt 0                 ; int8_utils_aot.py:0
	s_or_b32 s55, s26, 54
	s_or_b32 s59, s72, s54
	s_abs_i32 s24, s24
	.loc	1 79 68                         ; int8_utils_aot.py:79:68
	s_sub_i32 s21, s20, s78
	s_cmp_ge_u32 s20, s78
	s_cselect_b32 s20, s21, s20
	s_sub_i32 s21, s20, s78
	s_cmp_ge_u32 s20, s78
	s_cselect_b32 s20, s21, s20
	s_xor_b32 s20, s20, s86
	s_sub_i32 s20, s20, s86
	v_cvt_f32_u32_e32 v2, s81
	.loc	1 82 37 is_stmt 1               ; int8_utils_aot.py:82:37
	s_mul_i32 s20, s20, s18
	.loc	1 82 49 is_stmt 0               ; int8_utils_aot.py:82:49
	v_add_u32_e32 v6, s20, v4
	.loc	1 82 18                         ; int8_utils_aot.py:82:18
	v_ashrrev_i32_e32 v7, 31, v6
	.loc	1 0 0                           ; int8_utils_aot.py:0
	s_mul_hi_u32 s60, s58, s7
	v_writelane_b32 v255, s20, 23
	.loc	1 82 18                         ; int8_utils_aot.py:82:18
	v_lshl_add_u64 v[40:41], s[2:3], 0, v[6:7]
	v_mov_b32_e32 v169, 0
	v_mov_b32_e32 v170, 0
	.loc	1 91 20 is_stmt 1               ; int8_utils_aot.py:91:20
	s_and_saveexec_b64 s[20:21], s[22:23]
	s_cbranch_execz .LBB0_46
; %bb.45:
	global_load_ubyte v170, v[40:41], off
.LBB0_46:
	.loc	1 0 20 is_stmt 0                ; int8_utils_aot.py:0:20
	s_or_b64 exec, exec, s[20:21]
	.loc	1 79 68 is_stmt 1               ; int8_utils_aot.py:79:68
	s_mul_i32 s25, s25, s78
	s_sub_i32 s20, s33, s25
	s_xor_b32 s57, s6, s61
	.loc	1 0 0 is_stmt 0                 ; int8_utils_aot.py:0
	s_or_b32 s56, s26, 56
	s_or_b32 s64, s72, s55
	s_abs_i32 s6, s59
	.loc	1 79 68                         ; int8_utils_aot.py:79:68
	s_sub_i32 s21, s20, s78
	s_cmp_ge_u32 s20, s78
	s_cselect_b32 s20, s21, s20
	s_sub_i32 s21, s20, s78
	s_cmp_ge_u32 s20, s78
	s_cselect_b32 s20, s21, s20
	s_xor_b32 s20, s20, s86
	s_sub_i32 s20, s20, s86
	v_rcp_iflag_f32_e32 v2, v2
	.loc	1 82 37 is_stmt 1               ; int8_utils_aot.py:82:37
	s_mul_i32 s20, s20, s18
	.loc	1 82 49 is_stmt 0               ; int8_utils_aot.py:82:49
	v_add_u32_e32 v6, s20, v4
	.loc	1 82 18                         ; int8_utils_aot.py:82:18
	v_ashrrev_i32_e32 v7, 31, v6
	.loc	1 0 0                           ; int8_utils_aot.py:0
	s_mul_hi_u32 s59, s24, s7
	v_writelane_b32 v255, s20, 24
	.loc	1 82 18                         ; int8_utils_aot.py:82:18
	v_lshl_add_u64 v[42:43], s[2:3], 0, v[6:7]
	.loc	1 91 20 is_stmt 1               ; int8_utils_aot.py:91:20
	s_and_saveexec_b64 s[20:21], s[22:23]
	s_cbranch_execz .LBB0_48
; %bb.47:
	global_load_ubyte v169, v[42:43], off
.LBB0_48:
	.loc	1 0 20 is_stmt 0                ; int8_utils_aot.py:0:20
	s_or_b64 exec, exec, s[20:21]
	.loc	1 79 68 is_stmt 1               ; int8_utils_aot.py:79:68
	s_mul_i32 s60, s60, s78
	s_sub_i32 s20, s58, s60
	s_sub_i32 s62, s57, s61
	.loc	1 0 0 is_stmt 0                 ; int8_utils_aot.py:0
	s_or_b32 s57, s26, 58
	s_or_b32 s63, s72, s56
	s_abs_i32 s25, s64
	.loc	1 79 68                         ; int8_utils_aot.py:79:68
	s_sub_i32 s21, s20, s78
	s_cmp_ge_u32 s20, s78
	s_cselect_b32 s20, s21, s20
	s_sub_i32 s21, s20, s78
	s_cmp_ge_u32 s20, s78
	s_cselect_b32 s20, s21, s20
	s_xor_b32 s20, s20, s86
	s_sub_i32 s20, s20, s86
	.loc	1 82 37 is_stmt 1               ; int8_utils_aot.py:82:37
	s_mul_i32 s20, s20, s18
	.loc	1 82 49 is_stmt 0               ; int8_utils_aot.py:82:49
	v_add_u32_e32 v6, s20, v4
	.loc	1 82 18                         ; int8_utils_aot.py:82:18
	v_ashrrev_i32_e32 v7, 31, v6
	v_mul_f32_e32 v2, 0x4f7ffffe, v2
	.loc	1 0 0                           ; int8_utils_aot.py:0
	s_mul_hi_u32 s61, s6, s7
	v_writelane_b32 v255, s20, 25
	.loc	1 82 18                         ; int8_utils_aot.py:82:18
	v_lshl_add_u64 v[44:45], s[2:3], 0, v[6:7]
	v_mov_b32_e32 v171, 0
	v_mov_b32_e32 v172, 0
	.loc	1 91 20 is_stmt 1               ; int8_utils_aot.py:91:20
	s_and_saveexec_b64 s[20:21], s[22:23]
	s_cbranch_execz .LBB0_50
; %bb.49:
	global_load_ubyte v172, v[44:45], off
.LBB0_50:
	.loc	1 0 20 is_stmt 0                ; int8_utils_aot.py:0:20
	s_or_b64 exec, exec, s[20:21]
	.loc	1 79 68 is_stmt 1               ; int8_utils_aot.py:79:68
	s_mul_i32 s59, s59, s78
	s_sub_i32 s20, s24, s59
	s_lshl_b32 s33, s62, 7
	s_sub_i32 s65, 0, s81
	.loc	1 0 0 is_stmt 0                 ; int8_utils_aot.py:0
	s_or_b32 s58, s26, 60
	s_or_b32 s64, s72, s57
	s_abs_i32 s60, s63
	.loc	1 79 68                         ; int8_utils_aot.py:79:68
	s_sub_i32 s21, s20, s78
	s_cmp_ge_u32 s20, s78
	s_cselect_b32 s20, s21, s20
	s_sub_i32 s21, s20, s78
	s_cmp_ge_u32 s20, s78
	s_cselect_b32 s20, s21, s20
	s_xor_b32 s20, s20, s86
	s_sub_i32 s20, s20, s86
	v_cvt_u32_f32_e32 v2, v2
	.loc	1 82 37 is_stmt 1               ; int8_utils_aot.py:82:37
	s_mul_i32 s20, s20, s18
	.loc	1 82 49 is_stmt 0               ; int8_utils_aot.py:82:49
	v_add_u32_e32 v6, s20, v4
	.loc	1 82 18                         ; int8_utils_aot.py:82:18
	v_ashrrev_i32_e32 v7, 31, v6
	.loc	1 0 0                           ; int8_utils_aot.py:0
	s_mul_hi_u32 s63, s25, s7
	v_writelane_b32 v255, s20, 26
	.loc	1 82 18                         ; int8_utils_aot.py:82:18
	v_lshl_add_u64 v[54:55], s[2:3], 0, v[6:7]
	.loc	1 91 20 is_stmt 1               ; int8_utils_aot.py:91:20
	s_and_saveexec_b64 s[20:21], s[22:23]
	s_cbranch_execz .LBB0_52
; %bb.51:
	global_load_ubyte v171, v[54:55], off
.LBB0_52:
	.loc	1 0 20 is_stmt 0                ; int8_utils_aot.py:0:20
	s_or_b64 exec, exec, s[20:21]
	.loc	1 79 68 is_stmt 1               ; int8_utils_aot.py:79:68
	s_mul_i32 s61, s61, s78
	s_sub_i32 s6, s6, s61
	s_bfe_i32 s84, s62, 0x10018
	v_mul_lo_u32 v5, s65, v2
	.loc	1 0 0 is_stmt 0                 ; int8_utils_aot.py:0
	s_or_b32 s59, s26, 62
	s_or_b32 s65, s72, s58
	s_abs_i32 s24, s64
	.loc	1 79 68                         ; int8_utils_aot.py:79:68
	s_sub_i32 s20, s6, s78
	s_cmp_ge_u32 s6, s78
	s_cselect_b32 s6, s20, s6
	s_sub_i32 s20, s6, s78
	s_cmp_ge_u32 s6, s78
	s_cselect_b32 s6, s20, s6
	s_xor_b32 s6, s6, s86
	s_sub_i32 s6, s6, s86
	.loc	1 82 37 is_stmt 1               ; int8_utils_aot.py:82:37
	s_mul_i32 s6, s6, s18
	.loc	1 82 49 is_stmt 0               ; int8_utils_aot.py:82:49
	v_add_u32_e32 v6, s6, v4
	.loc	1 82 18                         ; int8_utils_aot.py:82:18
	v_ashrrev_i32_e32 v7, 31, v6
	v_or_b32_e32 v3, s33, v75
	.loc	1 0 0                           ; int8_utils_aot.py:0
	s_mul_hi_u32 s62, s60, s7
	v_writelane_b32 v255, s6, 27
	.loc	1 82 18                         ; int8_utils_aot.py:82:18
	v_lshl_add_u64 v[56:57], s[2:3], 0, v[6:7]
	v_mov_b32_e32 v173, 0
	v_mov_b32_e32 v174, 0
	.loc	1 91 20 is_stmt 1               ; int8_utils_aot.py:91:20
	s_and_saveexec_b64 s[20:21], s[22:23]
	s_cbranch_execz .LBB0_54
; %bb.53:
	global_load_ubyte v174, v[56:57], off
.LBB0_54:
	.loc	1 0 20 is_stmt 0                ; int8_utils_aot.py:0:20
	s_or_b64 exec, exec, s[20:21]
	.loc	1 79 68 is_stmt 1               ; int8_utils_aot.py:79:68
	s_mul_i32 s63, s63, s78
	s_sub_i32 s20, s25, s63
	.loc	1 0 0 is_stmt 0                 ; int8_utils_aot.py:0
	s_or_b32 s64, s72, s59
	s_abs_i32 s6, s65
	.loc	1 79 68                         ; int8_utils_aot.py:79:68
	s_sub_i32 s21, s20, s78
	s_cmp_ge_u32 s20, s78
	s_cselect_b32 s20, s21, s20
	s_sub_i32 s21, s20, s78
	s_cmp_ge_u32 s20, s78
	s_cselect_b32 s20, s21, s20
	s_xor_b32 s20, s20, s86
	s_sub_i32 s20, s20, s86
	.loc	1 82 37 is_stmt 1               ; int8_utils_aot.py:82:37
	s_mul_i32 s20, s20, s18
	.loc	1 82 49 is_stmt 0               ; int8_utils_aot.py:82:49
	v_add_u32_e32 v6, s20, v4
	.loc	1 82 18                         ; int8_utils_aot.py:82:18
	v_ashrrev_i32_e32 v7, 31, v6
	.loc	1 0 0                           ; int8_utils_aot.py:0
	v_mul_hi_u32 v5, v2, v5
	v_add_u32_e32 v3, s84, v3
	s_mul_hi_u32 s61, s24, s7
	v_writelane_b32 v255, s20, 28
	.loc	1 82 18                         ; int8_utils_aot.py:82:18
	v_lshl_add_u64 v[58:59], s[2:3], 0, v[6:7]
	.loc	1 91 20 is_stmt 1               ; int8_utils_aot.py:91:20
	s_and_saveexec_b64 s[20:21], s[22:23]
	s_cbranch_execz .LBB0_56
; %bb.55:
	global_load_ubyte v173, v[58:59], off
.LBB0_56:
	.loc	1 0 20 is_stmt 0                ; int8_utils_aot.py:0:20
	s_or_b64 exec, exec, s[20:21]
	.loc	1 79 68 is_stmt 1               ; int8_utils_aot.py:79:68
	s_mul_i32 s62, s62, s78
	s_sub_i32 s20, s60, s62
	.loc	1 0 0 is_stmt 0                 ; int8_utils_aot.py:0
	s_abs_i32 s25, s64
	.loc	1 79 68                         ; int8_utils_aot.py:79:68
	s_sub_i32 s21, s20, s78
	s_cmp_ge_u32 s20, s78
	s_cselect_b32 s20, s21, s20
	s_sub_i32 s21, s20, s78
	s_cmp_ge_u32 s20, s78
	s_cselect_b32 s20, s21, s20
	s_xor_b32 s20, s20, s86
	s_sub_i32 s20, s20, s86
	.loc	1 82 37 is_stmt 1               ; int8_utils_aot.py:82:37
	s_mul_i32 s20, s20, s18
	.loc	1 0 0 is_stmt 0                 ; int8_utils_aot.py:0
	v_add_u32_e32 v20, v2, v5
	.loc	1 82 49                         ; int8_utils_aot.py:82:49
	v_add_u32_e32 v2, s20, v4
	.loc	1 0 0                           ; int8_utils_aot.py:0
	v_xor_b32_e32 v5, s84, v3
	.loc	1 82 18                         ; int8_utils_aot.py:82:18
	v_ashrrev_i32_e32 v3, 31, v2
	.loc	1 0 0                           ; int8_utils_aot.py:0
	s_mul_hi_u32 s63, s6, s7
	v_writelane_b32 v255, s20, 29
	.loc	1 82 18                         ; int8_utils_aot.py:82:18
	v_lshl_add_u64 v[60:61], s[2:3], 0, v[2:3]
	v_mov_b32_e32 v175, 0
	v_mov_b32_e32 v176, 0
	.loc	1 91 20 is_stmt 1               ; int8_utils_aot.py:91:20
	s_and_saveexec_b64 s[20:21], s[22:23]
	s_cbranch_execz .LBB0_58
; %bb.57:
	global_load_ubyte v176, v[60:61], off
.LBB0_58:
	.loc	1 0 20 is_stmt 0                ; int8_utils_aot.py:0:20
	s_or_b64 exec, exec, s[20:21]
	v_mad_u64_u32 v[2:3], s[20:21], v5, v20, 0
	.loc	1 79 68 is_stmt 1               ; int8_utils_aot.py:79:68
	s_mul_i32 s61, s61, s78
	s_sub_i32 s20, s24, s61
	s_sub_i32 s21, s20, s78
	s_cmp_ge_u32 s20, s78
	s_cselect_b32 s20, s21, s20
	s_sub_i32 s21, s20, s78
	s_cmp_ge_u32 s20, s78
	s_cselect_b32 s20, s21, s20
	s_xor_b32 s20, s20, s86
	s_sub_i32 s91, s20, s86
	.loc	1 82 37                         ; int8_utils_aot.py:82:37
	s_mul_i32 s91, s91, s18
	.loc	1 82 49 is_stmt 0               ; int8_utils_aot.py:82:49
	v_add_u32_e32 v6, s91, v4
	.loc	1 82 18                         ; int8_utils_aot.py:82:18
	v_ashrrev_i32_e32 v7, 31, v6
	.loc	1 0 0                           ; int8_utils_aot.py:0
	s_mul_hi_u32 s60, s25, s7
	.loc	1 82 18                         ; int8_utils_aot.py:82:18
	v_lshl_add_u64 v[62:63], s[2:3], 0, v[6:7]
	.loc	1 91 20 is_stmt 1               ; int8_utils_aot.py:91:20
	s_and_saveexec_b64 s[20:21], s[22:23]
	s_cbranch_execz .LBB0_60
; %bb.59:
	global_load_ubyte v175, v[62:63], off
.LBB0_60:
	.loc	1 0 20 is_stmt 0                ; int8_utils_aot.py:0:20
	s_or_b64 exec, exec, s[20:21]
	.loc	1 79 68 is_stmt 1               ; int8_utils_aot.py:79:68
	s_mul_i32 s63, s63, s78
	s_sub_i32 s6, s6, s63
	s_sub_i32 s20, s6, s78
	s_cmp_ge_u32 s6, s78
	s_cselect_b32 s6, s20, s6
	s_sub_i32 s20, s6, s78
	s_cmp_ge_u32 s6, s78
	s_cselect_b32 s6, s20, s6
	s_xor_b32 s6, s6, s86
	s_sub_i32 s96, s6, s86
	.loc	1 82 37                         ; int8_utils_aot.py:82:37
	s_mul_i32 s96, s96, s18
	.loc	1 82 49 is_stmt 0               ; int8_utils_aot.py:82:49
	v_add_u32_e32 v6, s96, v4
	.loc	1 82 18                         ; int8_utils_aot.py:82:18
	v_ashrrev_i32_e32 v7, 31, v6
	v_lshl_add_u64 v[64:65], s[2:3], 0, v[6:7]
	v_mov_b32_e32 v177, 0
	v_mov_b32_e32 v178, 0
	.loc	1 91 20 is_stmt 1               ; int8_utils_aot.py:91:20
	s_and_saveexec_b64 s[20:21], s[22:23]
	s_cbranch_execz .LBB0_62
; %bb.61:
	global_load_ubyte v178, v[64:65], off
.LBB0_62:
	.loc	1 0 20 is_stmt 0                ; int8_utils_aot.py:0:20
	s_or_b64 exec, exec, s[20:21]
	.loc	1 79 68 is_stmt 1               ; int8_utils_aot.py:79:68
	s_mul_i32 s60, s60, s78
	s_sub_i32 s6, s25, s60
	s_sub_i32 s24, s6, s78
	s_cmp_ge_u32 s6, s78
	s_cselect_b32 s6, s24, s6
	s_sub_i32 s24, s6, s78
	s_cmp_ge_u32 s6, s78
	s_cselect_b32 s6, s24, s6
	s_xor_b32 s6, s6, s86
	s_load_dwordx2 s[20:21], s[0:1], 0x44
	s_sub_i32 s6, s6, s86
	.loc	1 82 37                         ; int8_utils_aot.py:82:37
	s_mul_i32 s6, s6, s18
	.loc	1 82 49 is_stmt 0               ; int8_utils_aot.py:82:49
	v_add_u32_e32 v6, s6, v4
	.loc	1 82 18                         ; int8_utils_aot.py:82:18
	v_ashrrev_i32_e32 v7, 31, v6
	v_lshl_add_u64 v[6:7], s[2:3], 0, v[6:7]
	.loc	1 91 20 is_stmt 1               ; int8_utils_aot.py:91:20
	s_and_saveexec_b64 s[24:25], s[22:23]
	s_cbranch_execz .LBB0_64
; %bb.63:
	global_load_ubyte v177, v[6:7], off
.LBB0_64:
	.loc	1 0 20 is_stmt 0                ; int8_utils_aot.py:0:20
	s_or_b64 exec, exec, s[24:25]
	.loc	1 80 68 is_stmt 1               ; int8_utils_aot.py:80:68
	v_mul_lo_u32 v2, v3, s81
	v_sub_u32_e32 v2, v5, v2
	v_subrev_u32_e32 v3, s81, v2
	v_cmp_le_u32_e32 vcc, s81, v2
	.loc	1 83 36                         ; int8_utils_aot.py:83:36
	s_waitcnt lgkmcnt(0)
	s_mul_i32 s18, s26, s20
	.loc	1 92 51                         ; int8_utils_aot.py:92:51
	s_cmp_ge_i32 s26, s14
	.loc	1 80 68                         ; int8_utils_aot.py:80:68
	v_cndmask_b32_e32 v2, v2, v3, vcc
	v_subrev_u32_e32 v3, s81, v2
	v_cmp_le_u32_e32 vcc, s81, v2
	.loc	1 92 51                         ; int8_utils_aot.py:92:51
	s_cselect_b64 s[24:25], -1, 0
	.loc	1 90 22                         ; int8_utils_aot.py:90:22
	s_xor_b64 s[22:23], s[16:17], -1
	.loc	1 80 68                         ; int8_utils_aot.py:80:68
	v_cndmask_b32_e32 v2, v2, v3, vcc
	v_xor_b32_e32 v2, s84, v2
	v_subrev_u32_e32 v2, s84, v2
	.loc	1 83 67                         ; int8_utils_aot.py:83:67
	v_mul_lo_u32 v2, v2, s21
	.loc	1 83 48 is_stmt 0               ; int8_utils_aot.py:83:48
	v_add_u32_e32 v34, s18, v2
	.loc	1 83 18                         ; int8_utils_aot.py:83:18
	v_ashrrev_i32_e32 v35, 31, v34
	.loc	1 92 20 is_stmt 1               ; int8_utils_aot.py:92:20
	s_or_b64 s[24:25], s[22:23], s[24:25]
	.loc	1 83 18                         ; int8_utils_aot.py:83:18
	v_lshl_add_u64 v[2:3], s[4:5], 0, v[34:35]
	.loc	1 92 20                         ; int8_utils_aot.py:92:20
	s_and_b64 vcc, exec, s[24:25]
	s_cbranch_vccnz .LBB0_66
; %bb.65:
	global_load_ubyte v179, v[2:3], off
	v_accvgpr_write_b32 a71, v3
	v_accvgpr_write_b32 a70, v2
	s_branch .LBB0_67
.LBB0_66:
	.loc	1 0 20 is_stmt 0                ; int8_utils_aot.py:0:20
	v_accvgpr_write_b32 a71, v3
	v_accvgpr_write_b32 a70, v2
	v_mov_b32_e32 v179, 0
.LBB0_67:
	.loc	1 83 48 is_stmt 1               ; int8_utils_aot.py:83:48
	v_lshl_add_u32 v2, s20, 1, v34
	.loc	1 92 51                         ; int8_utils_aot.py:92:51
	s_cmp_ge_i32 s27, s14
	.loc	1 83 18                         ; int8_utils_aot.py:83:18
	v_ashrrev_i32_e32 v3, 31, v2
	.loc	1 92 51                         ; int8_utils_aot.py:92:51
	s_cselect_b64 s[24:25], -1, 0
	v_accvgpr_write_b32 a131, v3
	.loc	1 92 20 is_stmt 0               ; int8_utils_aot.py:92:20
	s_or_b64 s[24:25], s[22:23], s[24:25]
	v_accvgpr_write_b32 a130, v2
	.loc	1 83 18 is_stmt 1               ; int8_utils_aot.py:83:18
	v_lshl_add_u64 v[2:3], s[4:5], 0, v[2:3]
	.loc	1 92 20                         ; int8_utils_aot.py:92:20
	s_and_b64 vcc, exec, s[24:25]
	s_cbranch_vccnz .LBB0_69
; %bb.68:
	global_load_ubyte v180, v[2:3], off
	v_accvgpr_write_b32 a75, v3
	v_accvgpr_write_b32 a74, v2
	s_branch .LBB0_70
.LBB0_69:
	.loc	1 0 20 is_stmt 0                ; int8_utils_aot.py:0:20
	v_accvgpr_write_b32 a75, v3
	v_accvgpr_write_b32 a74, v2
	v_mov_b32_e32 v180, 0
.LBB0_70:
	.loc	1 83 48 is_stmt 1               ; int8_utils_aot.py:83:48
	v_lshl_add_u32 v2, s20, 2, v34
	.loc	1 92 51                         ; int8_utils_aot.py:92:51
	s_cmp_ge_i32 s28, s14
	.loc	1 83 18                         ; int8_utils_aot.py:83:18
	v_ashrrev_i32_e32 v3, 31, v2
	.loc	1 92 51                         ; int8_utils_aot.py:92:51
	s_cselect_b64 s[24:25], -1, 0
	v_accvgpr_write_b32 a133, v3
	.loc	1 92 20 is_stmt 0               ; int8_utils_aot.py:92:20
	s_or_b64 s[24:25], s[22:23], s[24:25]
	v_accvgpr_write_b32 a132, v2
	.loc	1 83 18 is_stmt 1               ; int8_utils_aot.py:83:18
	v_lshl_add_u64 v[2:3], s[4:5], 0, v[2:3]
	.loc	1 92 20                         ; int8_utils_aot.py:92:20
	s_and_b64 vcc, exec, s[24:25]
	s_cbranch_vccnz .LBB0_72
; %bb.71:
	global_load_ubyte v181, v[2:3], off
	v_accvgpr_write_b32 a77, v3
	v_accvgpr_write_b32 a76, v2
	s_branch .LBB0_73
.LBB0_72:
	.loc	1 0 20 is_stmt 0                ; int8_utils_aot.py:0:20
	v_accvgpr_write_b32 a77, v3
	v_accvgpr_write_b32 a76, v2
	v_mov_b32_e32 v181, 0
.LBB0_73:
	.loc	1 83 48 is_stmt 1               ; int8_utils_aot.py:83:48
	v_mad_u64_u32 v[2:3], s[24:25], s20, 6, v[34:35]
	.loc	1 92 51                         ; int8_utils_aot.py:92:51
	s_cmp_ge_i32 s29, s14
	.loc	1 83 18                         ; int8_utils_aot.py:83:18
	v_ashrrev_i32_e32 v3, 31, v2
	.loc	1 92 51                         ; int8_utils_aot.py:92:51
	s_cselect_b64 s[24:25], -1, 0
	v_accvgpr_write_b32 a135, v3
	.loc	1 92 20 is_stmt 0               ; int8_utils_aot.py:92:20
	s_or_b64 s[24:25], s[22:23], s[24:25]
	v_accvgpr_write_b32 a134, v2
	.loc	1 83 18 is_stmt 1               ; int8_utils_aot.py:83:18
	v_lshl_add_u64 v[2:3], s[4:5], 0, v[2:3]
	.loc	1 92 20                         ; int8_utils_aot.py:92:20
	s_and_b64 vcc, exec, s[24:25]
	s_cbranch_vccnz .LBB0_75
; %bb.74:
	global_load_ubyte v182, v[2:3], off
	v_accvgpr_write_b32 a79, v3
	v_accvgpr_write_b32 a78, v2
	s_branch .LBB0_76
.LBB0_75:
	.loc	1 0 20 is_stmt 0                ; int8_utils_aot.py:0:20
	v_accvgpr_write_b32 a79, v3
	v_accvgpr_write_b32 a78, v2
	v_mov_b32_e32 v182, 0
.LBB0_76:
	.loc	1 83 48 is_stmt 1               ; int8_utils_aot.py:83:48
	v_lshl_add_u32 v2, s20, 3, v34
	.loc	1 92 51                         ; int8_utils_aot.py:92:51
	s_cmp_ge_i32 s30, s14
	.loc	1 83 18                         ; int8_utils_aot.py:83:18
	v_ashrrev_i32_e32 v3, 31, v2
	.loc	1 92 51                         ; int8_utils_aot.py:92:51
	s_cselect_b64 s[24:25], -1, 0
	v_accvgpr_write_b32 a137, v3
	.loc	1 92 20 is_stmt 0               ; int8_utils_aot.py:92:20
	s_or_b64 s[24:25], s[22:23], s[24:25]
	v_accvgpr_write_b32 a136, v2
	.loc	1 83 18 is_stmt 1               ; int8_utils_aot.py:83:18
	v_lshl_add_u64 v[2:3], s[4:5], 0, v[2:3]
	.loc	1 92 20                         ; int8_utils_aot.py:92:20
	s_and_b64 vcc, exec, s[24:25]
	s_cbranch_vccnz .LBB0_78
; %bb.77:
	global_load_ubyte v183, v[2:3], off
	v_accvgpr_write_b32 a81, v3
	v_accvgpr_write_b32 a80, v2
	s_branch .LBB0_79
.LBB0_78:
	.loc	1 0 20 is_stmt 0                ; int8_utils_aot.py:0:20
	v_accvgpr_write_b32 a81, v3
	v_accvgpr_write_b32 a80, v2
	v_mov_b32_e32 v183, 0
.LBB0_79:
	.loc	1 83 48 is_stmt 1               ; int8_utils_aot.py:83:48
	v_mad_u64_u32 v[2:3], s[24:25], s20, 10, v[34:35]
	.loc	1 92 51                         ; int8_utils_aot.py:92:51
	s_cmp_ge_i32 s31, s14
	.loc	1 83 18                         ; int8_utils_aot.py:83:18
	v_ashrrev_i32_e32 v3, 31, v2
	.loc	1 92 51                         ; int8_utils_aot.py:92:51
	s_cselect_b64 s[24:25], -1, 0
	v_accvgpr_write_b32 a139, v3
	.loc	1 92 20 is_stmt 0               ; int8_utils_aot.py:92:20
	s_or_b64 s[24:25], s[22:23], s[24:25]
	v_accvgpr_write_b32 a138, v2
	.loc	1 83 18 is_stmt 1               ; int8_utils_aot.py:83:18
	v_lshl_add_u64 v[2:3], s[4:5], 0, v[2:3]
	.loc	1 92 20                         ; int8_utils_aot.py:92:20
	s_and_b64 vcc, exec, s[24:25]
	s_cbranch_vccnz .LBB0_81
; %bb.80:
	global_load_ubyte v184, v[2:3], off
	v_accvgpr_write_b32 a83, v3
	v_accvgpr_write_b32 a82, v2
	s_branch .LBB0_82
.LBB0_81:
	.loc	1 0 20 is_stmt 0                ; int8_utils_aot.py:0:20
	v_accvgpr_write_b32 a83, v3
	v_accvgpr_write_b32 a82, v2
	v_mov_b32_e32 v184, 0
.LBB0_82:
	.loc	1 83 48 is_stmt 1               ; int8_utils_aot.py:83:48
	v_mad_u64_u32 v[2:3], s[24:25], s20, 12, v[34:35]
	;; [unrolled: 28-line block ×3, first 2 shown]
	.loc	1 92 51                         ; int8_utils_aot.py:92:51
	s_cmp_ge_i32 s35, s14
	.loc	1 83 18                         ; int8_utils_aot.py:83:18
	v_ashrrev_i32_e32 v3, 31, v2
	.loc	1 92 51                         ; int8_utils_aot.py:92:51
	s_cselect_b64 s[24:25], -1, 0
	v_accvgpr_write_b32 a143, v3
	.loc	1 92 20 is_stmt 0               ; int8_utils_aot.py:92:20
	s_or_b64 s[24:25], s[22:23], s[24:25]
	v_accvgpr_write_b32 a142, v2
	.loc	1 83 18 is_stmt 1               ; int8_utils_aot.py:83:18
	v_lshl_add_u64 v[2:3], s[4:5], 0, v[2:3]
	.loc	1 92 20                         ; int8_utils_aot.py:92:20
	s_and_b64 vcc, exec, s[24:25]
	s_cbranch_vccnz .LBB0_87
; %bb.86:
	global_load_ubyte v186, v[2:3], off
	v_accvgpr_write_b32 a87, v3
	v_accvgpr_write_b32 a86, v2
	s_branch .LBB0_88
.LBB0_87:
	.loc	1 0 20 is_stmt 0                ; int8_utils_aot.py:0:20
	v_accvgpr_write_b32 a87, v3
	v_accvgpr_write_b32 a86, v2
	v_mov_b32_e32 v186, 0
.LBB0_88:
	.loc	1 83 48 is_stmt 1               ; int8_utils_aot.py:83:48
	v_lshl_add_u32 v2, s20, 4, v34
	.loc	1 92 51                         ; int8_utils_aot.py:92:51
	s_cmp_ge_i32 s36, s14
	.loc	1 83 18                         ; int8_utils_aot.py:83:18
	v_ashrrev_i32_e32 v3, 31, v2
	.loc	1 92 51                         ; int8_utils_aot.py:92:51
	s_cselect_b64 s[24:25], -1, 0
	v_accvgpr_write_b32 a145, v3
	.loc	1 92 20 is_stmt 0               ; int8_utils_aot.py:92:20
	s_or_b64 s[24:25], s[22:23], s[24:25]
	v_accvgpr_write_b32 a144, v2
	.loc	1 83 18 is_stmt 1               ; int8_utils_aot.py:83:18
	v_lshl_add_u64 v[2:3], s[4:5], 0, v[2:3]
	.loc	1 92 20                         ; int8_utils_aot.py:92:20
	s_and_b64 vcc, exec, s[24:25]
	s_cbranch_vccnz .LBB0_90
; %bb.89:
	global_load_ubyte v187, v[2:3], off
	v_accvgpr_write_b32 a89, v3
	v_accvgpr_write_b32 a88, v2
	s_branch .LBB0_91
.LBB0_90:
	.loc	1 0 20 is_stmt 0                ; int8_utils_aot.py:0:20
	v_accvgpr_write_b32 a89, v3
	v_accvgpr_write_b32 a88, v2
	v_mov_b32_e32 v187, 0
.LBB0_91:
	.loc	1 83 48 is_stmt 1               ; int8_utils_aot.py:83:48
	v_mad_u64_u32 v[2:3], s[24:25], s20, 18, v[34:35]
	.loc	1 92 51                         ; int8_utils_aot.py:92:51
	s_cmp_ge_i32 s37, s14
	.loc	1 83 18                         ; int8_utils_aot.py:83:18
	v_ashrrev_i32_e32 v3, 31, v2
	.loc	1 92 51                         ; int8_utils_aot.py:92:51
	s_cselect_b64 s[24:25], -1, 0
	v_accvgpr_write_b32 a147, v3
	.loc	1 92 20 is_stmt 0               ; int8_utils_aot.py:92:20
	s_or_b64 s[24:25], s[22:23], s[24:25]
	v_accvgpr_write_b32 a146, v2
	.loc	1 83 18 is_stmt 1               ; int8_utils_aot.py:83:18
	v_lshl_add_u64 v[2:3], s[4:5], 0, v[2:3]
	.loc	1 92 20                         ; int8_utils_aot.py:92:20
	s_and_b64 vcc, exec, s[24:25]
	s_cbranch_vccnz .LBB0_93
; %bb.92:
	global_load_ubyte v188, v[2:3], off
	v_accvgpr_write_b32 a91, v3
	v_accvgpr_write_b32 a90, v2
	s_branch .LBB0_94
.LBB0_93:
	.loc	1 0 20 is_stmt 0                ; int8_utils_aot.py:0:20
	v_accvgpr_write_b32 a91, v3
	v_accvgpr_write_b32 a90, v2
	v_mov_b32_e32 v188, 0
.LBB0_94:
	.loc	1 83 48 is_stmt 1               ; int8_utils_aot.py:83:48
	v_mad_u64_u32 v[2:3], s[24:25], s20, 20, v[34:35]
	.loc	1 92 51                         ; int8_utils_aot.py:92:51
	s_cmp_ge_i32 s38, s14
	.loc	1 83 18                         ; int8_utils_aot.py:83:18
	v_ashrrev_i32_e32 v3, 31, v2
	.loc	1 92 51                         ; int8_utils_aot.py:92:51
	s_cselect_b64 s[24:25], -1, 0
	v_accvgpr_write_b32 a149, v3
	.loc	1 92 20 is_stmt 0               ; int8_utils_aot.py:92:20
	s_or_b64 s[24:25], s[22:23], s[24:25]
	v_accvgpr_write_b32 a148, v2
	.loc	1 83 18 is_stmt 1               ; int8_utils_aot.py:83:18
	v_lshl_add_u64 v[2:3], s[4:5], 0, v[2:3]
	.loc	1 92 20                         ; int8_utils_aot.py:92:20
	s_and_b64 vcc, exec, s[24:25]
	s_cbranch_vccnz .LBB0_96
; %bb.95:
	global_load_ubyte v189, v[2:3], off
	v_accvgpr_write_b32 a93, v3
	v_accvgpr_write_b32 a92, v2
	s_branch .LBB0_97
.LBB0_96:
	.loc	1 0 20 is_stmt 0                ; int8_utils_aot.py:0:20
	v_accvgpr_write_b32 a93, v3
	v_accvgpr_write_b32 a92, v2
	v_mov_b32_e32 v189, 0
.LBB0_97:
	.loc	1 83 48 is_stmt 1               ; int8_utils_aot.py:83:48
	v_mad_u64_u32 v[2:3], s[24:25], s20, 22, v[34:35]
	.loc	1 92 51                         ; int8_utils_aot.py:92:51
	s_cmp_ge_i32 s39, s14
	.loc	1 83 18                         ; int8_utils_aot.py:83:18
	v_ashrrev_i32_e32 v3, 31, v2
	.loc	1 92 51                         ; int8_utils_aot.py:92:51
	s_cselect_b64 s[24:25], -1, 0
	v_accvgpr_write_b32 a151, v3
	.loc	1 92 20 is_stmt 0               ; int8_utils_aot.py:92:20
	s_or_b64 s[24:25], s[22:23], s[24:25]
	v_accvgpr_write_b32 a150, v2
	.loc	1 83 18 is_stmt 1               ; int8_utils_aot.py:83:18
	v_lshl_add_u64 v[2:3], s[4:5], 0, v[2:3]
	.loc	1 92 20                         ; int8_utils_aot.py:92:20
	s_and_b64 vcc, exec, s[24:25]
	s_cbranch_vccnz .LBB0_99
; %bb.98:
	global_load_ubyte v190, v[2:3], off
	v_accvgpr_write_b32 a95, v3
	v_accvgpr_write_b32 a94, v2
	s_branch .LBB0_100
.LBB0_99:
	.loc	1 0 20 is_stmt 0                ; int8_utils_aot.py:0:20
	v_accvgpr_write_b32 a95, v3
	v_accvgpr_write_b32 a94, v2
	v_mov_b32_e32 v190, 0
.LBB0_100:
	.loc	1 83 48 is_stmt 1               ; int8_utils_aot.py:83:48
	v_mad_u64_u32 v[2:3], s[24:25], s20, 24, v[34:35]
	.loc	1 92 51                         ; int8_utils_aot.py:92:51
	s_cmp_ge_i32 s40, s14
	.loc	1 83 18                         ; int8_utils_aot.py:83:18
	v_ashrrev_i32_e32 v3, 31, v2
	.loc	1 92 51                         ; int8_utils_aot.py:92:51
	s_cselect_b64 s[24:25], -1, 0
	v_accvgpr_write_b32 a153, v3
	.loc	1 92 20 is_stmt 0               ; int8_utils_aot.py:92:20
	s_or_b64 s[24:25], s[22:23], s[24:25]
	v_accvgpr_write_b32 a152, v2
	.loc	1 83 18 is_stmt 1               ; int8_utils_aot.py:83:18
	v_lshl_add_u64 v[2:3], s[4:5], 0, v[2:3]
	.loc	1 92 20                         ; int8_utils_aot.py:92:20
	s_and_b64 vcc, exec, s[24:25]
	s_cbranch_vccnz .LBB0_102
; %bb.101:
	global_load_ubyte v191, v[2:3], off
	v_accvgpr_write_b32 a97, v3
	v_accvgpr_write_b32 a96, v2
	s_branch .LBB0_103
.LBB0_102:
	.loc	1 0 20 is_stmt 0                ; int8_utils_aot.py:0:20
	v_accvgpr_write_b32 a97, v3
	v_accvgpr_write_b32 a96, v2
	v_mov_b32_e32 v191, 0
.LBB0_103:
	.loc	1 83 48 is_stmt 1               ; int8_utils_aot.py:83:48
	v_mad_u64_u32 v[2:3], s[24:25], s20, 26, v[34:35]
	.loc	1 92 51                         ; int8_utils_aot.py:92:51
	s_cmp_ge_i32 s41, s14
	.loc	1 83 18                         ; int8_utils_aot.py:83:18
	v_ashrrev_i32_e32 v3, 31, v2
	.loc	1 92 51                         ; int8_utils_aot.py:92:51
	s_cselect_b64 s[24:25], -1, 0
	v_accvgpr_write_b32 a155, v3
	.loc	1 92 20 is_stmt 0               ; int8_utils_aot.py:92:20
	s_or_b64 s[24:25], s[22:23], s[24:25]
	v_accvgpr_write_b32 a154, v2
	.loc	1 83 18 is_stmt 1               ; int8_utils_aot.py:83:18
	v_lshl_add_u64 v[2:3], s[4:5], 0, v[2:3]
	.loc	1 92 20                         ; int8_utils_aot.py:92:20
	s_and_b64 vcc, exec, s[24:25]
	s_cbranch_vccnz .LBB0_105
; %bb.104:
	global_load_ubyte v192, v[2:3], off
	v_accvgpr_write_b32 a99, v3
	v_accvgpr_write_b32 a98, v2
	s_branch .LBB0_106
.LBB0_105:
	.loc	1 0 20 is_stmt 0                ; int8_utils_aot.py:0:20
	v_accvgpr_write_b32 a99, v3
	v_accvgpr_write_b32 a98, v2
	v_mov_b32_e32 v192, 0
.LBB0_106:
	.loc	1 83 48 is_stmt 1               ; int8_utils_aot.py:83:48
	v_mad_u64_u32 v[2:3], s[24:25], s20, 28, v[34:35]
	.loc	1 92 51                         ; int8_utils_aot.py:92:51
	s_cmp_ge_i32 s42, s14
	.loc	1 83 18                         ; int8_utils_aot.py:83:18
	v_ashrrev_i32_e32 v3, 31, v2
	.loc	1 92 51                         ; int8_utils_aot.py:92:51
	s_cselect_b64 s[24:25], -1, 0
	v_accvgpr_write_b32 a157, v3
	.loc	1 92 20 is_stmt 0               ; int8_utils_aot.py:92:20
	s_or_b64 s[24:25], s[22:23], s[24:25]
	v_accvgpr_write_b32 a156, v2
	.loc	1 83 18 is_stmt 1               ; int8_utils_aot.py:83:18
	v_lshl_add_u64 v[2:3], s[4:5], 0, v[2:3]
	.loc	1 92 20                         ; int8_utils_aot.py:92:20
	s_and_b64 vcc, exec, s[24:25]
	s_cbranch_vccnz .LBB0_108
; %bb.107:
	global_load_ubyte v193, v[2:3], off
	v_accvgpr_write_b32 a101, v3
	v_accvgpr_write_b32 a100, v2
	s_branch .LBB0_109
.LBB0_108:
	.loc	1 0 20 is_stmt 0                ; int8_utils_aot.py:0:20
	v_accvgpr_write_b32 a101, v3
	v_accvgpr_write_b32 a100, v2
	v_mov_b32_e32 v193, 0
.LBB0_109:
	.loc	1 83 48 is_stmt 1               ; int8_utils_aot.py:83:48
	v_mad_u64_u32 v[2:3], s[24:25], s20, 30, v[34:35]
	.loc	1 92 51                         ; int8_utils_aot.py:92:51
	s_cmp_ge_i32 s43, s14
	.loc	1 83 18                         ; int8_utils_aot.py:83:18
	v_ashrrev_i32_e32 v3, 31, v2
	.loc	1 92 51                         ; int8_utils_aot.py:92:51
	s_cselect_b64 s[24:25], -1, 0
	v_accvgpr_write_b32 a161, v3
	.loc	1 92 20 is_stmt 0               ; int8_utils_aot.py:92:20
	s_or_b64 s[24:25], s[22:23], s[24:25]
	v_accvgpr_write_b32 a160, v2
	.loc	1 83 18 is_stmt 1               ; int8_utils_aot.py:83:18
	v_lshl_add_u64 v[2:3], s[4:5], 0, v[2:3]
	.loc	1 92 20                         ; int8_utils_aot.py:92:20
	s_and_b64 vcc, exec, s[24:25]
	s_cbranch_vccnz .LBB0_111
; %bb.110:
	global_load_ubyte v194, v[2:3], off
	v_accvgpr_write_b32 a103, v3
	v_accvgpr_write_b32 a102, v2
	s_branch .LBB0_112
.LBB0_111:
	.loc	1 0 20 is_stmt 0                ; int8_utils_aot.py:0:20
	v_accvgpr_write_b32 a103, v3
	v_accvgpr_write_b32 a102, v2
	v_mov_b32_e32 v194, 0
.LBB0_112:
	.loc	1 83 48 is_stmt 1               ; int8_utils_aot.py:83:48
	v_lshl_add_u32 v2, s20, 5, v34
	.loc	1 92 51                         ; int8_utils_aot.py:92:51
	s_cmp_ge_i32 s44, s14
	.loc	1 83 18                         ; int8_utils_aot.py:83:18
	v_ashrrev_i32_e32 v3, 31, v2
	.loc	1 92 51                         ; int8_utils_aot.py:92:51
	s_cselect_b64 s[24:25], -1, 0
	v_accvgpr_write_b32 a163, v3
	.loc	1 92 20 is_stmt 0               ; int8_utils_aot.py:92:20
	s_or_b64 s[24:25], s[22:23], s[24:25]
	v_accvgpr_write_b32 a162, v2
	.loc	1 83 18 is_stmt 1               ; int8_utils_aot.py:83:18
	v_lshl_add_u64 v[2:3], s[4:5], 0, v[2:3]
	.loc	1 92 20                         ; int8_utils_aot.py:92:20
	s_and_b64 vcc, exec, s[24:25]
	s_cbranch_vccnz .LBB0_114
; %bb.113:
	global_load_ubyte v195, v[2:3], off
	v_accvgpr_write_b32 a105, v3
	v_accvgpr_write_b32 a104, v2
	s_branch .LBB0_115
.LBB0_114:
	.loc	1 0 20 is_stmt 0                ; int8_utils_aot.py:0:20
	v_accvgpr_write_b32 a105, v3
	v_accvgpr_write_b32 a104, v2
	v_mov_b32_e32 v195, 0
.LBB0_115:
	.loc	1 83 48 is_stmt 1               ; int8_utils_aot.py:83:48
	v_mad_u64_u32 v[2:3], s[24:25], s20, 34, v[34:35]
	.loc	1 92 51                         ; int8_utils_aot.py:92:51
	s_cmp_ge_i32 s45, s14
	.loc	1 83 18                         ; int8_utils_aot.py:83:18
	v_ashrrev_i32_e32 v3, 31, v2
	.loc	1 92 51                         ; int8_utils_aot.py:92:51
	s_cselect_b64 s[24:25], -1, 0
	v_accvgpr_write_b32 a165, v3
	.loc	1 92 20 is_stmt 0               ; int8_utils_aot.py:92:20
	s_or_b64 s[24:25], s[22:23], s[24:25]
	v_accvgpr_write_b32 a164, v2
	.loc	1 83 18 is_stmt 1               ; int8_utils_aot.py:83:18
	v_lshl_add_u64 v[2:3], s[4:5], 0, v[2:3]
	.loc	1 92 20                         ; int8_utils_aot.py:92:20
	s_and_b64 vcc, exec, s[24:25]
	s_cbranch_vccnz .LBB0_117
; %bb.116:
	global_load_ubyte v196, v[2:3], off
	v_accvgpr_write_b32 a107, v3
	v_accvgpr_write_b32 a106, v2
	s_branch .LBB0_118
.LBB0_117:
	.loc	1 0 20 is_stmt 0                ; int8_utils_aot.py:0:20
	v_accvgpr_write_b32 a107, v3
	v_accvgpr_write_b32 a106, v2
	v_mov_b32_e32 v196, 0
.LBB0_118:
	.loc	1 83 48 is_stmt 1               ; int8_utils_aot.py:83:48
	v_mad_u64_u32 v[2:3], s[24:25], s20, 36, v[34:35]
	;; [unrolled: 28-line block ×15, first 2 shown]
	.loc	1 92 51                         ; int8_utils_aot.py:92:51
	s_cmp_ge_i32 s59, s14
	.loc	1 83 18                         ; int8_utils_aot.py:83:18
	v_ashrrev_i32_e32 v3, 31, v2
	.loc	1 92 51                         ; int8_utils_aot.py:92:51
	s_cselect_b64 s[24:25], -1, 0
	v_accvgpr_write_b32 a193, v3
	.loc	1 92 20 is_stmt 0               ; int8_utils_aot.py:92:20
	s_or_b64 s[24:25], s[22:23], s[24:25]
	v_accvgpr_write_b32 a192, v2
	.loc	1 83 18 is_stmt 1               ; int8_utils_aot.py:83:18
	v_lshl_add_u64 v[2:3], s[4:5], 0, v[2:3]
	.loc	1 92 20                         ; int8_utils_aot.py:92:20
	s_and_b64 vcc, exec, s[24:25]
	s_cbranch_vccnz .LBB0_159
; %bb.158:
	global_load_ubyte v210, v[2:3], off
	v_accvgpr_write_b32 a221, v3
	v_accvgpr_write_b32 a220, v2
	s_branch .LBB0_160
.LBB0_159:
	.loc	1 0 20 is_stmt 0                ; int8_utils_aot.py:0:20
	v_accvgpr_write_b32 a221, v3
	v_accvgpr_write_b32 a220, v2
	v_mov_b32_e32 v210, 0
.LBB0_160:
	.loc	1 83 25 is_stmt 1               ; int8_utils_aot.py:83:25
	s_or_b32 s24, s26, 64
	.loc	1 83 48 is_stmt 0               ; int8_utils_aot.py:83:48
	v_lshl_add_u32 v2, s20, 6, v34
	.loc	1 92 51 is_stmt 1               ; int8_utils_aot.py:92:51
	s_cmp_ge_i32 s24, s14
	.loc	1 83 18                         ; int8_utils_aot.py:83:18
	v_ashrrev_i32_e32 v3, 31, v2
	.loc	1 92 51                         ; int8_utils_aot.py:92:51
	s_cselect_b64 s[60:61], -1, 0
	v_accvgpr_write_b32 a195, v3
	.loc	1 92 20 is_stmt 0               ; int8_utils_aot.py:92:20
	s_or_b64 s[60:61], s[22:23], s[60:61]
	v_accvgpr_write_b32 a194, v2
	.loc	1 83 18 is_stmt 1               ; int8_utils_aot.py:83:18
	v_lshl_add_u64 v[2:3], s[4:5], 0, v[2:3]
	.loc	1 92 20                         ; int8_utils_aot.py:92:20
	s_and_b64 vcc, exec, s[60:61]
	s_cbranch_vccnz .LBB0_162
; %bb.161:
	global_load_ubyte v211, v[2:3], off
	v_accvgpr_write_b32 a223, v3
	v_accvgpr_write_b32 a222, v2
	s_branch .LBB0_163
.LBB0_162:
	.loc	1 0 20 is_stmt 0                ; int8_utils_aot.py:0:20
	v_accvgpr_write_b32 a223, v3
	v_accvgpr_write_b32 a222, v2
	v_mov_b32_e32 v211, 0
.LBB0_163:
	.loc	1 83 25 is_stmt 1               ; int8_utils_aot.py:83:25
	s_or_b32 s25, s26, 0x42
	.loc	1 83 36 is_stmt 0               ; int8_utils_aot.py:83:36
	s_mul_i32 s18, s20, 0x42
	.loc	1 83 48                         ; int8_utils_aot.py:83:48
	v_add_u32_e32 v2, s18, v34
	.loc	1 92 51 is_stmt 1               ; int8_utils_aot.py:92:51
	s_cmp_ge_i32 s25, s14
	.loc	1 83 18                         ; int8_utils_aot.py:83:18
	v_ashrrev_i32_e32 v3, 31, v2
	.loc	1 92 51                         ; int8_utils_aot.py:92:51
	s_cselect_b64 s[60:61], -1, 0
	v_accvgpr_write_b32 a197, v3
	.loc	1 92 20 is_stmt 0               ; int8_utils_aot.py:92:20
	s_or_b64 s[60:61], s[22:23], s[60:61]
	v_accvgpr_write_b32 a196, v2
	.loc	1 83 18 is_stmt 1               ; int8_utils_aot.py:83:18
	v_lshl_add_u64 v[2:3], s[4:5], 0, v[2:3]
	.loc	1 92 20                         ; int8_utils_aot.py:92:20
	s_and_b64 vcc, exec, s[60:61]
	s_cbranch_vccnz .LBB0_165
; %bb.164:
	global_load_ubyte v212, v[2:3], off
	v_accvgpr_write_b32 a225, v3
	v_accvgpr_write_b32 a224, v2
	s_branch .LBB0_166
.LBB0_165:
	.loc	1 0 20 is_stmt 0                ; int8_utils_aot.py:0:20
	v_accvgpr_write_b32 a225, v3
	v_accvgpr_write_b32 a224, v2
	v_mov_b32_e32 v212, 0
.LBB0_166:
	.loc	1 83 25 is_stmt 1               ; int8_utils_aot.py:83:25
	s_or_b32 s60, s26, 0x44
	.loc	1 83 36 is_stmt 0               ; int8_utils_aot.py:83:36
	s_mul_i32 s18, s20, 0x44
	.loc	1 83 48                         ; int8_utils_aot.py:83:48
	v_add_u32_e32 v2, s18, v34
	.loc	1 92 51 is_stmt 1               ; int8_utils_aot.py:92:51
	s_cmp_ge_i32 s60, s14
	.loc	1 83 18                         ; int8_utils_aot.py:83:18
	v_ashrrev_i32_e32 v3, 31, v2
	.loc	1 92 51                         ; int8_utils_aot.py:92:51
	s_cselect_b64 s[62:63], -1, 0
	v_accvgpr_write_b32 a199, v3
	.loc	1 92 20 is_stmt 0               ; int8_utils_aot.py:92:20
	s_or_b64 s[62:63], s[22:23], s[62:63]
	v_accvgpr_write_b32 a198, v2
	.loc	1 83 18 is_stmt 1               ; int8_utils_aot.py:83:18
	v_lshl_add_u64 v[2:3], s[4:5], 0, v[2:3]
	.loc	1 92 20                         ; int8_utils_aot.py:92:20
	s_and_b64 vcc, exec, s[62:63]
	s_cbranch_vccnz .LBB0_168
; %bb.167:
	global_load_ubyte v213, v[2:3], off
	v_accvgpr_write_b32 a227, v3
	v_accvgpr_write_b32 a226, v2
	s_branch .LBB0_169
.LBB0_168:
	.loc	1 0 20 is_stmt 0                ; int8_utils_aot.py:0:20
	v_accvgpr_write_b32 a227, v3
	v_accvgpr_write_b32 a226, v2
	v_mov_b32_e32 v213, 0
.LBB0_169:
	.loc	1 83 25 is_stmt 1               ; int8_utils_aot.py:83:25
	s_or_b32 s61, s26, 0x46
	.loc	1 83 36 is_stmt 0               ; int8_utils_aot.py:83:36
	s_mul_i32 s18, s20, 0x46
	.loc	1 83 48                         ; int8_utils_aot.py:83:48
	v_add_u32_e32 v2, s18, v34
	.loc	1 92 51 is_stmt 1               ; int8_utils_aot.py:92:51
	s_cmp_ge_i32 s61, s14
	.loc	1 83 18                         ; int8_utils_aot.py:83:18
	v_ashrrev_i32_e32 v3, 31, v2
	.loc	1 92 51                         ; int8_utils_aot.py:92:51
	s_cselect_b64 s[62:63], -1, 0
	v_accvgpr_write_b32 a201, v3
	.loc	1 92 20 is_stmt 0               ; int8_utils_aot.py:92:20
	s_or_b64 s[62:63], s[22:23], s[62:63]
	v_accvgpr_write_b32 a200, v2
	.loc	1 83 18 is_stmt 1               ; int8_utils_aot.py:83:18
	v_lshl_add_u64 v[2:3], s[4:5], 0, v[2:3]
	.loc	1 92 20                         ; int8_utils_aot.py:92:20
	s_and_b64 vcc, exec, s[62:63]
	s_cbranch_vccnz .LBB0_171
; %bb.170:
	global_load_ubyte v214, v[2:3], off
	v_accvgpr_write_b32 a33, v27
	v_accvgpr_write_b32 a229, v3
	;; [unrolled: 1-line block ×4, first 2 shown]
	s_branch .LBB0_172
.LBB0_171:
	.loc	1 0 20 is_stmt 0                ; int8_utils_aot.py:0:20
	v_accvgpr_write_b32 a229, v3
	v_accvgpr_write_b32 a33, v27
	;; [unrolled: 1-line block ×4, first 2 shown]
	v_mov_b32_e32 v214, 0
.LBB0_172:
	.loc	1 83 25 is_stmt 1               ; int8_utils_aot.py:83:25
	s_or_b32 s62, s26, 0x48
	.loc	1 83 36 is_stmt 0               ; int8_utils_aot.py:83:36
	s_mul_i32 s18, s20, 0x48
	.loc	1 83 48                         ; int8_utils_aot.py:83:48
	v_add_u32_e32 v2, s18, v34
	.loc	1 92 51 is_stmt 1               ; int8_utils_aot.py:92:51
	s_cmp_ge_i32 s62, s14
	.loc	1 83 18                         ; int8_utils_aot.py:83:18
	v_ashrrev_i32_e32 v3, 31, v2
	.loc	1 92 51                         ; int8_utils_aot.py:92:51
	s_cselect_b64 s[64:65], -1, 0
	v_accvgpr_write_b32 a203, v3
	.loc	1 92 20 is_stmt 0               ; int8_utils_aot.py:92:20
	s_or_b64 s[64:65], s[22:23], s[64:65]
	v_accvgpr_write_b32 a35, v29
	v_accvgpr_write_b32 a202, v2
	.loc	1 83 18 is_stmt 1               ; int8_utils_aot.py:83:18
	v_lshl_add_u64 v[26:27], s[4:5], 0, v[2:3]
	v_accvgpr_write_b32 a34, v28
	.loc	1 92 20                         ; int8_utils_aot.py:92:20
	s_and_b64 vcc, exec, s[64:65]
	s_cbranch_vccnz .LBB0_174
; %bb.173:
	global_load_ubyte v215, v[26:27], off
	s_branch .LBB0_175
.LBB0_174:
	.loc	1 0 20 is_stmt 0                ; int8_utils_aot.py:0:20
	v_mov_b32_e32 v215, 0
.LBB0_175:
	.loc	1 83 25 is_stmt 1               ; int8_utils_aot.py:83:25
	s_or_b32 s63, s26, 0x4a
	.loc	1 83 36 is_stmt 0               ; int8_utils_aot.py:83:36
	s_mul_i32 s18, s20, 0x4a
	.loc	1 83 48                         ; int8_utils_aot.py:83:48
	v_add_u32_e32 v2, s18, v34
	.loc	1 92 51 is_stmt 1               ; int8_utils_aot.py:92:51
	s_cmp_ge_i32 s63, s14
	.loc	1 83 18                         ; int8_utils_aot.py:83:18
	v_ashrrev_i32_e32 v3, 31, v2
	.loc	1 92 51                         ; int8_utils_aot.py:92:51
	s_cselect_b64 s[64:65], -1, 0
	v_accvgpr_write_b32 a205, v3
	.loc	1 92 20 is_stmt 0               ; int8_utils_aot.py:92:20
	s_or_b64 s[64:65], s[22:23], s[64:65]
	v_accvgpr_write_b32 a37, v31
	v_accvgpr_write_b32 a204, v2
	.loc	1 83 18 is_stmt 1               ; int8_utils_aot.py:83:18
	v_lshl_add_u64 v[28:29], s[4:5], 0, v[2:3]
	v_accvgpr_write_b32 a36, v30
	.loc	1 92 20                         ; int8_utils_aot.py:92:20
	s_and_b64 vcc, exec, s[64:65]
	s_cbranch_vccnz .LBB0_177
; %bb.176:
	global_load_ubyte v216, v[28:29], off
	s_branch .LBB0_178
.LBB0_177:
	.loc	1 0 20 is_stmt 0                ; int8_utils_aot.py:0:20
	v_mov_b32_e32 v216, 0
.LBB0_178:
	.loc	1 83 25 is_stmt 1               ; int8_utils_aot.py:83:25
	s_or_b32 s64, s26, 0x4c
	.loc	1 83 36 is_stmt 0               ; int8_utils_aot.py:83:36
	s_mul_i32 s18, s20, 0x4c
	.loc	1 83 48                         ; int8_utils_aot.py:83:48
	v_add_u32_e32 v2, s18, v34
	.loc	1 92 51 is_stmt 1               ; int8_utils_aot.py:92:51
	s_cmp_ge_i32 s64, s14
	.loc	1 83 18                         ; int8_utils_aot.py:83:18
	v_ashrrev_i32_e32 v3, 31, v2
	.loc	1 92 51                         ; int8_utils_aot.py:92:51
	s_cselect_b64 s[66:67], -1, 0
	v_accvgpr_write_b32 a207, v3
	.loc	1 92 20 is_stmt 0               ; int8_utils_aot.py:92:20
	s_or_b64 s[66:67], s[22:23], s[66:67]
	v_accvgpr_write_b32 a206, v2
	.loc	1 83 18 is_stmt 1               ; int8_utils_aot.py:83:18
	v_lshl_add_u64 v[30:31], s[4:5], 0, v[2:3]
	.loc	1 92 20                         ; int8_utils_aot.py:92:20
	s_and_b64 vcc, exec, s[66:67]
	s_cbranch_vccnz .LBB0_180
; %bb.179:
	global_load_ubyte v217, v[30:31], off
	s_branch .LBB0_181
.LBB0_180:
	.loc	1 0 20 is_stmt 0                ; int8_utils_aot.py:0:20
	v_mov_b32_e32 v217, 0
.LBB0_181:
	.loc	1 83 25 is_stmt 1               ; int8_utils_aot.py:83:25
	s_or_b32 s65, s26, 0x4e
	.loc	1 83 36 is_stmt 0               ; int8_utils_aot.py:83:36
	s_mul_i32 s18, s20, 0x4e
	.loc	1 83 48                         ; int8_utils_aot.py:83:48
	v_add_u32_e32 v2, s18, v34
	.loc	1 92 51 is_stmt 1               ; int8_utils_aot.py:92:51
	s_cmp_ge_i32 s65, s14
	.loc	1 83 18                         ; int8_utils_aot.py:83:18
	v_ashrrev_i32_e32 v3, 31, v2
	.loc	1 92 51                         ; int8_utils_aot.py:92:51
	s_cselect_b64 s[66:67], -1, 0
	v_accvgpr_write_b32 a209, v3
	.loc	1 92 20 is_stmt 0               ; int8_utils_aot.py:92:20
	s_or_b64 s[66:67], s[22:23], s[66:67]
	v_accvgpr_write_b32 a208, v2
	.loc	1 83 18 is_stmt 1               ; int8_utils_aot.py:83:18
	v_lshl_add_u64 v[228:229], s[4:5], 0, v[2:3]
	.loc	1 92 20                         ; int8_utils_aot.py:92:20
	s_and_b64 vcc, exec, s[66:67]
	s_cbranch_vccnz .LBB0_183
; %bb.182:
	global_load_ubyte v218, v[228:229], off
	s_branch .LBB0_184
.LBB0_183:
	.loc	1 0 20 is_stmt 0                ; int8_utils_aot.py:0:20
	v_mov_b32_e32 v218, 0
.LBB0_184:
	.loc	1 83 25 is_stmt 1               ; int8_utils_aot.py:83:25
	s_or_b32 s66, s26, 0x50
	.loc	1 83 36 is_stmt 0               ; int8_utils_aot.py:83:36
	s_mul_i32 s18, s20, 0x50
	.loc	1 92 51 is_stmt 1               ; int8_utils_aot.py:92:51
	s_cmp_ge_i32 s66, s14
	.loc	1 83 48                         ; int8_utils_aot.py:83:48
	v_add_u32_e32 v114, s18, v34
	.loc	1 92 51                         ; int8_utils_aot.py:92:51
	s_cselect_b64 s[68:69], -1, 0
	.loc	1 83 18                         ; int8_utils_aot.py:83:18
	v_ashrrev_i32_e32 v115, 31, v114
	.loc	1 92 20                         ; int8_utils_aot.py:92:20
	s_or_b64 s[68:69], s[22:23], s[68:69]
	.loc	1 83 18                         ; int8_utils_aot.py:83:18
	v_lshl_add_u64 v[230:231], s[4:5], 0, v[114:115]
	.loc	1 92 20                         ; int8_utils_aot.py:92:20
	s_and_b64 vcc, exec, s[68:69]
	s_cbranch_vccnz .LBB0_186
; %bb.185:
	global_load_ubyte v219, v[230:231], off
	s_branch .LBB0_187
.LBB0_186:
	.loc	1 0 20 is_stmt 0                ; int8_utils_aot.py:0:20
	v_mov_b32_e32 v219, 0
.LBB0_187:
	.loc	1 83 25 is_stmt 1               ; int8_utils_aot.py:83:25
	s_or_b32 s67, s26, 0x52
	.loc	1 83 36 is_stmt 0               ; int8_utils_aot.py:83:36
	s_mul_i32 s18, s20, 0x52
	.loc	1 92 51 is_stmt 1               ; int8_utils_aot.py:92:51
	s_cmp_ge_i32 s67, s14
	.loc	1 83 48                         ; int8_utils_aot.py:83:48
	v_add_u32_e32 v116, s18, v34
	.loc	1 92 51                         ; int8_utils_aot.py:92:51
	s_cselect_b64 s[68:69], -1, 0
	.loc	1 83 18                         ; int8_utils_aot.py:83:18
	v_ashrrev_i32_e32 v117, 31, v116
	.loc	1 92 20                         ; int8_utils_aot.py:92:20
	s_or_b64 s[68:69], s[22:23], s[68:69]
	.loc	1 83 18                         ; int8_utils_aot.py:83:18
	;; [unrolled: 26-line block ×10, first 2 shown]
	v_lshl_add_u64 v[248:249], s[4:5], 0, v[132:133]
	.loc	1 92 20                         ; int8_utils_aot.py:92:20
	s_and_b64 vcc, exec, s[82:83]
	s_cbranch_vccnz .LBB0_213
; %bb.212:
	global_load_ubyte a0, v[248:249], off
	s_branch .LBB0_214
.LBB0_213:
	.loc	1 0 20 is_stmt 0                ; int8_utils_aot.py:0:20
	v_accvgpr_write_b32 a0, 0
.LBB0_214:
	.loc	1 83 25 is_stmt 1               ; int8_utils_aot.py:83:25
	s_or_b32 s80, s26, 0x64
	.loc	1 83 36 is_stmt 0               ; int8_utils_aot.py:83:36
	s_mul_i32 s18, s20, 0x64
	.loc	1 92 51 is_stmt 1               ; int8_utils_aot.py:92:51
	s_cmp_ge_i32 s80, s14
	.loc	1 83 48                         ; int8_utils_aot.py:83:48
	v_add_u32_e32 v134, s18, v34
	.loc	1 92 51                         ; int8_utils_aot.py:92:51
	s_cselect_b64 s[82:83], -1, 0
	.loc	1 83 18                         ; int8_utils_aot.py:83:18
	v_ashrrev_i32_e32 v135, 31, v134
	.loc	1 92 20                         ; int8_utils_aot.py:92:20
	s_or_b64 s[82:83], s[22:23], s[82:83]
	.loc	1 83 18                         ; int8_utils_aot.py:83:18
	v_lshl_add_u64 v[250:251], s[4:5], 0, v[134:135]
	.loc	1 92 20                         ; int8_utils_aot.py:92:20
	s_and_b64 vcc, exec, s[82:83]
	s_cbranch_vccnz .LBB0_216
; %bb.215:
	global_load_ubyte a1, v[250:251], off
	s_branch .LBB0_217
.LBB0_216:
	.loc	1 0 20 is_stmt 0                ; int8_utils_aot.py:0:20
	v_accvgpr_write_b32 a1, 0
.LBB0_217:
	.loc	1 83 25 is_stmt 1               ; int8_utils_aot.py:83:25
	s_or_b32 s82, s26, 0x66
	.loc	1 83 36 is_stmt 0               ; int8_utils_aot.py:83:36
	s_mul_i32 s18, s20, 0x66
	.loc	1 92 51 is_stmt 1               ; int8_utils_aot.py:92:51
	s_cmp_ge_i32 s82, s14
	.loc	1 83 48                         ; int8_utils_aot.py:83:48
	v_add_u32_e32 v136, s18, v34
	.loc	1 92 51                         ; int8_utils_aot.py:92:51
	s_cselect_b64 s[88:89], -1, 0
	.loc	1 83 18                         ; int8_utils_aot.py:83:18
	v_ashrrev_i32_e32 v137, 31, v136
	.loc	1 92 20                         ; int8_utils_aot.py:92:20
	s_or_b64 s[88:89], s[22:23], s[88:89]
	.loc	1 83 18                         ; int8_utils_aot.py:83:18
	;; [unrolled: 26-line block ×3, first 2 shown]
	v_lshl_add_u64 v[2:3], s[4:5], 0, v[138:139]
	.loc	1 92 20                         ; int8_utils_aot.py:92:20
	s_and_b64 vcc, exec, s[88:89]
	s_cbranch_vccnz .LBB0_222
; %bb.221:
	global_load_ubyte a3, v[2:3], off
	s_branch .LBB0_223
.LBB0_222:
	.loc	1 0 20 is_stmt 0                ; int8_utils_aot.py:0:20
	v_accvgpr_write_b32 a3, 0
.LBB0_223:
	.loc	1 83 25 is_stmt 1               ; int8_utils_aot.py:83:25
	s_or_b32 s85, s26, 0x6a
	.loc	1 83 36 is_stmt 0               ; int8_utils_aot.py:83:36
	s_mul_i32 s18, s20, 0x6a
	.loc	1 92 51 is_stmt 1               ; int8_utils_aot.py:92:51
	s_cmp_ge_i32 s85, s14
	.loc	1 83 48                         ; int8_utils_aot.py:83:48
	v_add_u32_e32 v140, s18, v34
	.loc	1 92 51                         ; int8_utils_aot.py:92:51
	s_cselect_b64 s[88:89], -1, 0
	.loc	1 83 18                         ; int8_utils_aot.py:83:18
	v_ashrrev_i32_e32 v141, 31, v140
	.loc	1 92 20                         ; int8_utils_aot.py:92:20
	s_or_b64 s[88:89], s[22:23], s[88:89]
	v_accvgpr_write_b32 a73, v7
	.loc	1 83 18                         ; int8_utils_aot.py:83:18
	v_lshl_add_u64 v[4:5], s[4:5], 0, v[140:141]
	v_accvgpr_write_b32 a72, v6
	.loc	1 92 20                         ; int8_utils_aot.py:92:20
	s_and_b64 vcc, exec, s[88:89]
	s_cbranch_vccnz .LBB0_225
; %bb.224:
	global_load_ubyte a4, v[4:5], off
	s_branch .LBB0_226
.LBB0_225:
	.loc	1 0 20 is_stmt 0                ; int8_utils_aot.py:0:20
	v_accvgpr_write_b32 a4, 0
.LBB0_226:
	.loc	1 83 25 is_stmt 1               ; int8_utils_aot.py:83:25
	s_or_b32 s87, s26, 0x6c
	.loc	1 83 36 is_stmt 0               ; int8_utils_aot.py:83:36
	s_mul_i32 s18, s20, 0x6c
	.loc	1 92 51 is_stmt 1               ; int8_utils_aot.py:92:51
	s_cmp_ge_i32 s87, s14
	.loc	1 83 48                         ; int8_utils_aot.py:83:48
	v_add_u32_e32 v142, s18, v34
	.loc	1 92 51                         ; int8_utils_aot.py:92:51
	s_cselect_b64 s[88:89], -1, 0
	v_and_b32_e32 v6, 32, v0
	.loc	1 83 18                         ; int8_utils_aot.py:83:18
	v_ashrrev_i32_e32 v143, 31, v142
	.loc	1 92 20                         ; int8_utils_aot.py:92:20
	s_or_b64 s[88:89], s[22:23], s[88:89]
	v_accvgpr_write_b32 a17, v9
	v_accvgpr_write_b32 a158, v6
	.loc	1 83 18                         ; int8_utils_aot.py:83:18
	v_lshl_add_u64 v[6:7], s[4:5], 0, v[142:143]
	v_accvgpr_write_b32 a16, v8
	.loc	1 92 20                         ; int8_utils_aot.py:92:20
	s_and_b64 vcc, exec, s[88:89]
	s_cbranch_vccnz .LBB0_228
; %bb.227:
	global_load_ubyte a5, v[6:7], off
	s_branch .LBB0_229
.LBB0_228:
	.loc	1 0 20 is_stmt 0                ; int8_utils_aot.py:0:20
	v_accvgpr_write_b32 a5, 0
.LBB0_229:
	s_lshr_b32 s18, s76, 1
	.loc	1 83 25 is_stmt 1               ; int8_utils_aot.py:83:25
	s_or_b32 s88, s26, 0x6e
	.loc	1 83 36 is_stmt 0               ; int8_utils_aot.py:83:36
	s_mul_i32 s21, s20, 0x6e
	.loc	1 92 51 is_stmt 1               ; int8_utils_aot.py:92:51
	s_cmp_ge_i32 s88, s14
	.loc	1 83 48                         ; int8_utils_aot.py:83:48
	v_add_u32_e32 v144, s21, v34
	.loc	1 92 51                         ; int8_utils_aot.py:92:51
	s_cselect_b64 s[92:93], -1, 0
	.loc	1 83 18                         ; int8_utils_aot.py:83:18
	v_ashrrev_i32_e32 v145, 31, v144
	.loc	1 92 20                         ; int8_utils_aot.py:92:20
	s_or_b64 s[92:93], s[22:23], s[92:93]
	v_accvgpr_write_b32 a69, v65
	v_accvgpr_write_b32 a67, v63
	;; [unrolled: 1-line block ×13, first 2 shown]
	.loc	1 83 18                         ; int8_utils_aot.py:83:18
	v_lshl_add_u64 v[8:9], s[4:5], 0, v[144:145]
	v_accvgpr_write_b32 a68, v64
	v_accvgpr_write_b32 a66, v62
	;; [unrolled: 1-line block ×13, first 2 shown]
	.loc	1 92 20                         ; int8_utils_aot.py:92:20
	s_and_b64 vcc, exec, s[92:93]
	s_cbranch_vccnz .LBB0_231
; %bb.230:
	global_load_ubyte a6, v[8:9], off
	s_branch .LBB0_232
.LBB0_231:
	.loc	1 0 20 is_stmt 0                ; int8_utils_aot.py:0:20
	v_accvgpr_write_b32 a6, 0
.LBB0_232:
	.loc	1 83 25 is_stmt 1               ; int8_utils_aot.py:83:25
	s_or_b32 s90, s26, 0x70
	.loc	1 83 36 is_stmt 0               ; int8_utils_aot.py:83:36
	s_mul_i32 s21, s20, 0x70
	.loc	1 92 51 is_stmt 1               ; int8_utils_aot.py:92:51
	s_cmp_ge_i32 s90, s14
	v_accvgpr_read_b32 v10, a158
	.loc	1 83 48                         ; int8_utils_aot.py:83:48
	v_add_u32_e32 v146, s21, v34
	.loc	1 92 51                         ; int8_utils_aot.py:92:51
	s_cselect_b64 s[92:93], -1, 0
	v_lshrrev_b32_e32 v10, 3, v10
	.loc	1 83 18                         ; int8_utils_aot.py:83:18
	v_ashrrev_i32_e32 v147, 31, v146
	.loc	1 92 20                         ; int8_utils_aot.py:92:20
	s_or_b64 s[92:93], s[22:23], s[92:93]
	v_accvgpr_write_b32 a23, v15
	v_and_b32_e32 v70, 31, v0
	v_or_b32_e32 v12, s18, v10
	.loc	1 83 18                         ; int8_utils_aot.py:83:18
	v_lshl_add_u64 v[10:11], s[4:5], 0, v[146:147]
	v_accvgpr_write_b32 a22, v14
	.loc	1 92 20                         ; int8_utils_aot.py:92:20
	s_and_b64 vcc, exec, s[92:93]
	s_cbranch_vccnz .LBB0_234
; %bb.233:
	global_load_ubyte a7, v[10:11], off
	s_branch .LBB0_235
.LBB0_234:
	.loc	1 0 20 is_stmt 0                ; int8_utils_aot.py:0:20
	v_accvgpr_write_b32 a7, 0
.LBB0_235:
	.loc	1 83 25 is_stmt 1               ; int8_utils_aot.py:83:25
	s_or_b32 s92, s26, 0x72
	.loc	1 83 36 is_stmt 0               ; int8_utils_aot.py:83:36
	s_mul_i32 s21, s20, 0x72
	.loc	1 92 51 is_stmt 1               ; int8_utils_aot.py:92:51
	s_cmp_ge_i32 s92, s14
	.loc	1 83 48                         ; int8_utils_aot.py:83:48
	v_add_u32_e32 v148, s21, v34
	.loc	1 92 51                         ; int8_utils_aot.py:92:51
	s_cselect_b64 vcc, -1, 0
	.loc	1 83 18                         ; int8_utils_aot.py:83:18
	v_ashrrev_i32_e32 v149, 31, v148
	.loc	1 92 20                         ; int8_utils_aot.py:92:20
	s_or_b64 vcc, s[22:23], vcc
	v_accvgpr_write_b32 a27, v19
	v_or_b32_e32 v43, s72, v70
	v_or_b32_e32 v14, s33, v12
	.loc	1 83 18                         ; int8_utils_aot.py:83:18
	v_lshl_add_u64 v[12:13], s[4:5], 0, v[148:149]
	v_accvgpr_write_b32 a26, v18
	.loc	1 92 20                         ; int8_utils_aot.py:92:20
	s_and_b64 vcc, exec, vcc
	s_cbranch_vccnz .LBB0_237
; %bb.236:
	global_load_ubyte a8, v[12:13], off
	s_branch .LBB0_238
.LBB0_237:
	.loc	1 0 20 is_stmt 0                ; int8_utils_aot.py:0:20
	v_accvgpr_write_b32 a8, 0
.LBB0_238:
	.loc	1 83 25 is_stmt 1               ; int8_utils_aot.py:83:25
	s_or_b32 s93, s26, 0x74
	.loc	1 83 36 is_stmt 0               ; int8_utils_aot.py:83:36
	s_mul_i32 s21, s20, 0x74
	.loc	1 92 51 is_stmt 1               ; int8_utils_aot.py:92:51
	s_cmp_ge_i32 s93, s14
	.loc	1 83 48                         ; int8_utils_aot.py:83:48
	v_add_u32_e32 v150, s21, v34
	.loc	1 92 51                         ; int8_utils_aot.py:92:51
	s_cselect_b64 vcc, -1, 0
	.loc	1 83 18                         ; int8_utils_aot.py:83:18
	v_ashrrev_i32_e32 v151, 31, v150
	.loc	1 92 20                         ; int8_utils_aot.py:92:20
	s_or_b64 vcc, s[22:23], vcc
	v_accvgpr_write_b32 a39, v33
	v_accvgpr_write_b32 a31, v25
	;; [unrolled: 1-line block ×4, first 2 shown]
	v_or_b32_e32 v44, 32, v43
	v_add_u32_e32 v18, s84, v14
	.loc	1 83 18                         ; int8_utils_aot.py:83:18
	v_lshl_add_u64 v[14:15], s[4:5], 0, v[150:151]
	v_accvgpr_write_b32 a38, v32
	v_accvgpr_write_b32 a30, v24
	;; [unrolled: 1-line block ×4, first 2 shown]
	.loc	1 92 20                         ; int8_utils_aot.py:92:20
	s_and_b64 vcc, exec, vcc
	s_cbranch_vccnz .LBB0_240
; %bb.239:
	global_load_ubyte a9, v[14:15], off
	s_branch .LBB0_241
.LBB0_240:
	.loc	1 0 20 is_stmt 0                ; int8_utils_aot.py:0:20
	v_accvgpr_write_b32 a9, 0
.LBB0_241:
	.loc	1 83 25 is_stmt 1               ; int8_utils_aot.py:83:25
	s_or_b32 s95, s26, 0x76
	.loc	1 83 36 is_stmt 0               ; int8_utils_aot.py:83:36
	s_mul_i32 s21, s20, 0x76
	.loc	1 92 51 is_stmt 1               ; int8_utils_aot.py:92:51
	s_cmp_ge_i32 s95, s14
	.loc	1 83 48                         ; int8_utils_aot.py:83:48
	v_add_u32_e32 v152, s21, v34
	.loc	1 92 51                         ; int8_utils_aot.py:92:51
	s_cselect_b64 vcc, -1, 0
	.loc	1 83 18                         ; int8_utils_aot.py:83:18
	v_ashrrev_i32_e32 v153, 31, v152
	.loc	1 92 20                         ; int8_utils_aot.py:92:20
	s_or_b64 vcc, s[22:23], vcc
	v_add_u32_e32 v19, 1, v18
	v_add_u32_e32 v21, 2, v18
	;; [unrolled: 1-line block ×15, first 2 shown]
	.loc	1 83 18                         ; int8_utils_aot.py:83:18
	v_lshl_add_u64 v[16:17], s[4:5], 0, v[152:153]
	.loc	1 92 20                         ; int8_utils_aot.py:92:20
	s_and_b64 vcc, exec, vcc
	s_cbranch_vccnz .LBB0_243
; %bb.242:
	global_load_ubyte a10, v[16:17], off
	s_branch .LBB0_244
.LBB0_243:
	.loc	1 0 20 is_stmt 0                ; int8_utils_aot.py:0:20
	v_accvgpr_write_b32 a10, 0
.LBB0_244:
	.loc	1 83 25 is_stmt 1               ; int8_utils_aot.py:83:25
	s_or_b32 s97, s26, 0x78
	.loc	1 83 36 is_stmt 0               ; int8_utils_aot.py:83:36
	s_mul_i32 s21, s20, 0x78
	.loc	1 92 51 is_stmt 1               ; int8_utils_aot.py:92:51
	s_cmp_ge_i32 s97, s14
	v_accvgpr_write_b32 a129, v43
	v_add_u32_e32 v43, s86, v43
	.loc	1 83 48                         ; int8_utils_aot.py:83:48
	v_add_u32_e32 v154, s21, v34
	.loc	1 92 51                         ; int8_utils_aot.py:92:51
	s_cselect_b64 vcc, -1, 0
	v_xor_b32_e32 v89, s86, v43
	v_add_u32_e32 v43, s86, v44
	.loc	1 83 18                         ; int8_utils_aot.py:83:18
	v_ashrrev_i32_e32 v155, 31, v154
	.loc	1 92 20                         ; int8_utils_aot.py:92:20
	s_or_b64 vcc, s[22:23], vcc
	v_accvgpr_write_b32 a46, v52
	v_accvgpr_write_b32 a44, v50
	;; [unrolled: 1-line block ×4, first 2 shown]
	v_xor_b32_e32 v88, s86, v43
	v_xor_b32_e32 v87, s84, v18
	;; [unrolled: 1-line block ×17, first 2 shown]
	.loc	1 83 18                         ; int8_utils_aot.py:83:18
	v_lshl_add_u64 v[18:19], s[4:5], 0, v[154:155]
	v_accvgpr_write_b32 a47, v53
	v_accvgpr_write_b32 a45, v51
	;; [unrolled: 1-line block ×5, first 2 shown]
	.loc	1 92 20                         ; int8_utils_aot.py:92:20
	s_and_b64 vcc, exec, vcc
	s_cbranch_vccnz .LBB0_246
; %bb.245:
	global_load_ubyte a11, v[18:19], off
	s_branch .LBB0_247
.LBB0_246:
	.loc	1 0 20 is_stmt 0                ; int8_utils_aot.py:0:20
	v_accvgpr_write_b32 a11, 0
.LBB0_247:
	.loc	1 83 25 is_stmt 1               ; int8_utils_aot.py:83:25
	s_or_b32 s72, s26, 0x7a
	v_mad_u64_u32 v[68:69], vcc, v89, s7, 0
	v_mad_u64_u32 v[66:67], vcc, v88, s7, 0
	v_mad_u64_u32 v[64:65], vcc, v87, v20, 0
	v_mad_u64_u32 v[62:63], vcc, v86, v20, 0
	v_mad_u64_u32 v[60:61], vcc, v85, v20, 0
	v_mad_u64_u32 v[58:59], vcc, v84, v20, 0
	v_mad_u64_u32 v[56:57], vcc, v83, v20, 0
	v_mad_u64_u32 v[54:55], vcc, v82, v20, 0
	v_mad_u64_u32 v[52:53], vcc, v81, v20, 0
	v_mad_u64_u32 v[50:51], vcc, v80, v20, 0
	v_mad_u64_u32 v[48:49], vcc, v79, v20, 0
	v_mad_u64_u32 v[46:47], vcc, v78, v20, 0
	v_mad_u64_u32 v[44:45], vcc, v77, v20, 0
	v_mad_u64_u32 v[42:43], vcc, v76, v20, 0
	v_mad_u64_u32 v[40:41], vcc, v74, v20, 0
	v_mad_u64_u32 v[38:39], vcc, v73, v20, 0
	v_mad_u64_u32 v[36:37], vcc, v72, v20, 0
	v_mad_u64_u32 v[32:33], vcc, v71, v20, 0
	.loc	1 83 36 is_stmt 0               ; int8_utils_aot.py:83:36
	s_mul_i32 s7, s20, 0x7a
	.loc	1 92 51 is_stmt 1               ; int8_utils_aot.py:92:51
	s_cmp_ge_i32 s72, s14
	.loc	1 83 48                         ; int8_utils_aot.py:83:48
	v_add_u32_e32 v156, s7, v34
	.loc	1 92 51                         ; int8_utils_aot.py:92:51
	s_cselect_b64 vcc, -1, 0
	.loc	1 83 18                         ; int8_utils_aot.py:83:18
	v_ashrrev_i32_e32 v157, 31, v156
	.loc	1 92 20                         ; int8_utils_aot.py:92:20
	s_or_b64 vcc, s[22:23], vcc
	.loc	1 83 18                         ; int8_utils_aot.py:83:18
	v_lshl_add_u64 v[20:21], s[4:5], 0, v[156:157]
	.loc	1 92 20                         ; int8_utils_aot.py:92:20
	s_and_b64 vcc, exec, vcc
	s_cbranch_vccnz .LBB0_249
; %bb.248:
	global_load_ubyte a12, v[20:21], off
	s_branch .LBB0_250
.LBB0_249:
	.loc	1 0 20 is_stmt 0                ; int8_utils_aot.py:0:20
	v_accvgpr_write_b32 a12, 0
.LBB0_250:
	.loc	1 83 25 is_stmt 1               ; int8_utils_aot.py:83:25
	s_or_b32 s7, s26, 0x7c
	.loc	1 83 36 is_stmt 0               ; int8_utils_aot.py:83:36
	s_mul_i32 s21, s20, 0x7c
	.loc	1 92 51 is_stmt 1               ; int8_utils_aot.py:92:51
	s_cmp_ge_i32 s7, s14
	.loc	1 83 48                         ; int8_utils_aot.py:83:48
	v_add_u32_e32 v158, s21, v34
	.loc	1 92 51                         ; int8_utils_aot.py:92:51
	s_cselect_b64 vcc, -1, 0
	.loc	1 83 18                         ; int8_utils_aot.py:83:18
	v_ashrrev_i32_e32 v159, 31, v158
	.loc	1 92 20                         ; int8_utils_aot.py:92:20
	s_or_b64 vcc, s[22:23], vcc
	.loc	1 83 18                         ; int8_utils_aot.py:83:18
	v_lshl_add_u64 v[22:23], s[4:5], 0, v[158:159]
	.loc	1 92 20                         ; int8_utils_aot.py:92:20
	s_and_b64 vcc, exec, vcc
	s_cbranch_vccnz .LBB0_252
; %bb.251:
	global_load_ubyte a13, v[22:23], off
	s_branch .LBB0_253
.LBB0_252:
	.loc	1 0 20 is_stmt 0                ; int8_utils_aot.py:0:20
	v_accvgpr_write_b32 a13, 0
.LBB0_253:
	s_load_dword s89, s[0:1], 0x54
	s_load_dword s21, s[0:1], 0x60
	v_or_b32_e32 v1, s76, v1
	.loc	1 83 25 is_stmt 1               ; int8_utils_aot.py:83:25
	s_or_b32 s76, s26, 0x7e
	.loc	1 83 36 is_stmt 0               ; int8_utils_aot.py:83:36
	s_mul_i32 s98, s20, 0x7e
	.loc	1 92 51 is_stmt 1               ; int8_utils_aot.py:92:51
	s_cmp_ge_i32 s76, s14
	.loc	1 83 48                         ; int8_utils_aot.py:83:48
	v_add_u32_e32 v160, s98, v34
	.loc	1 92 51                         ; int8_utils_aot.py:92:51
	s_cselect_b64 vcc, -1, 0
	.loc	1 83 18                         ; int8_utils_aot.py:83:18
	v_ashrrev_i32_e32 v161, 31, v160
	.loc	1 92 20                         ; int8_utils_aot.py:92:20
	s_or_b64 s[22:23], s[22:23], vcc
	.loc	1 83 18                         ; int8_utils_aot.py:83:18
	v_lshl_add_u64 v[24:25], s[4:5], 0, v[160:161]
	.loc	1 92 20                         ; int8_utils_aot.py:92:20
	s_and_b64 vcc, exec, s[22:23]
	s_cbranch_vccnz .LBB0_255
; %bb.254:
	global_load_ubyte a14, v[24:25], off
	s_branch .LBB0_256
.LBB0_255:
	.loc	1 0 20 is_stmt 0                ; int8_utils_aot.py:0:20
	v_accvgpr_write_b32 a14, 0
.LBB0_256:
	.loc	1 79 68 is_stmt 1               ; int8_utils_aot.py:79:68
	v_mul_lo_u32 v32, v69, s78
	v_sub_u32_e32 v32, v89, v32
	v_subrev_u32_e32 v36, s78, v32
	v_cmp_le_u32_e32 vcc, s78, v32
	.loc	1 80 68                         ; int8_utils_aot.py:80:68
	v_mul_lo_u32 v51, v51, s81
	v_sub_u32_e32 v51, v80, v51
	.loc	1 79 68                         ; int8_utils_aot.py:79:68
	v_cndmask_b32_e32 v32, v32, v36, vcc
	v_subrev_u32_e32 v36, s78, v32
	v_cmp_le_u32_e32 vcc, s78, v32
	.loc	1 80 68                         ; int8_utils_aot.py:80:68
	v_mul_lo_u32 v49, v49, s81
	v_sub_u32_e32 v49, v79, v49
	.loc	1 79 68                         ; int8_utils_aot.py:79:68
	v_cndmask_b32_e32 v32, v32, v36, vcc
	v_mul_lo_u32 v36, v67, s78
	v_sub_u32_e32 v36, v88, v36
	v_subrev_u32_e32 v38, s78, v36
	v_cmp_le_u32_e32 vcc, s78, v36
	.loc	1 80 68                         ; int8_utils_aot.py:80:68
	v_mul_lo_u32 v47, v47, s81
	v_sub_u32_e32 v47, v78, v47
	.loc	1 79 68                         ; int8_utils_aot.py:79:68
	v_cndmask_b32_e32 v36, v36, v38, vcc
	v_subrev_u32_e32 v38, s78, v36
	v_cmp_le_u32_e32 vcc, s78, v36
	.loc	1 80 68                         ; int8_utils_aot.py:80:68
	v_mul_lo_u32 v45, v45, s81
	v_sub_u32_e32 v45, v77, v45
	.loc	1 79 68                         ; int8_utils_aot.py:79:68
	v_cndmask_b32_e32 v36, v36, v38, vcc
	.loc	1 80 68                         ; int8_utils_aot.py:80:68
	v_mul_lo_u32 v38, v65, s81
	v_sub_u32_e32 v38, v87, v38
	v_subrev_u32_e32 v40, s81, v38
	v_cmp_le_u32_e32 vcc, s81, v38
	.loc	1 86 26                         ; int8_utils_aot.py:86:26
	s_abs_i32 s22, s15
	.loc	1 80 68                         ; int8_utils_aot.py:80:68
	v_mul_lo_u32 v43, v43, s81
	v_cndmask_b32_e32 v38, v38, v40, vcc
	v_subrev_u32_e32 v40, s81, v38
	v_cmp_le_u32_e32 vcc, s81, v38
	.loc	1 86 26                         ; int8_utils_aot.py:86:26
	v_cvt_f32_u32_e32 v54, s22
	.loc	1 80 68                         ; int8_utils_aot.py:80:68
	v_sub_u32_e32 v43, v76, v43
	v_cndmask_b32_e32 v38, v38, v40, vcc
	v_mul_lo_u32 v40, v63, s81
	v_sub_u32_e32 v40, v86, v40
	v_subrev_u32_e32 v42, s81, v40
	v_cmp_le_u32_e32 vcc, s81, v40
	v_mul_lo_u32 v41, v41, s81
	v_sub_u32_e32 v41, v74, v41
	v_cndmask_b32_e32 v40, v40, v42, vcc
	v_subrev_u32_e32 v42, s81, v40
	v_cmp_le_u32_e32 vcc, s81, v40
	.loc	1 86 26                         ; int8_utils_aot.py:86:26
	v_rcp_iflag_f32_e32 v54, v54
	.loc	1 80 68                         ; int8_utils_aot.py:80:68
	v_mul_lo_u32 v39, v39, s81
	v_cndmask_b32_e32 v40, v40, v42, vcc
	v_mul_lo_u32 v42, v61, s81
	v_sub_u32_e32 v42, v85, v42
	v_subrev_u32_e32 v44, s81, v42
	v_cmp_le_u32_e32 vcc, s81, v42
	v_sub_u32_e32 v39, v73, v39
	.loc	1 86 26                         ; int8_utils_aot.py:86:26
	v_mul_f32_e32 v54, 0x4f7ffffe, v54
	.loc	1 80 68                         ; int8_utils_aot.py:80:68
	v_cndmask_b32_e32 v42, v42, v44, vcc
	v_subrev_u32_e32 v44, s81, v42
	v_cmp_le_u32_e32 vcc, s81, v42
	v_mul_lo_u32 v37, v37, s81
	.loc	1 86 26                         ; int8_utils_aot.py:86:26
	v_cvt_u32_f32_e32 v54, v54
	.loc	1 80 68                         ; int8_utils_aot.py:80:68
	v_cndmask_b32_e32 v42, v42, v44, vcc
	v_mul_lo_u32 v44, v59, s81
	v_sub_u32_e32 v44, v84, v44
	v_subrev_u32_e32 v46, s81, v44
	v_cmp_le_u32_e32 vcc, s81, v44
	v_xor_b32_e32 v38, s84, v38
	v_sub_u32_e32 v37, v72, v37
	v_cndmask_b32_e32 v44, v44, v46, vcc
	v_subrev_u32_e32 v46, s81, v44
	v_cmp_le_u32_e32 vcc, s81, v44
	v_subrev_u32_e32 v38, s84, v38
	.loc	1 86 26                         ; int8_utils_aot.py:86:26
	v_sub_u32_e32 v56, 0, v38
	.loc	1 80 68                         ; int8_utils_aot.py:80:68
	v_cndmask_b32_e32 v44, v44, v46, vcc
	v_mul_lo_u32 v46, v57, s81
	v_sub_u32_e32 v46, v83, v46
	v_subrev_u32_e32 v48, s81, v46
	v_cmp_le_u32_e32 vcc, s81, v46
	.loc	1 86 26                         ; int8_utils_aot.py:86:26
	s_sub_i32 s23, 0, s22
	.loc	1 80 68                         ; int8_utils_aot.py:80:68
	v_mul_lo_u32 v33, v33, s81
	v_cndmask_b32_e32 v46, v46, v48, vcc
	v_subrev_u32_e32 v48, s81, v46
	v_cmp_le_u32_e32 vcc, s81, v46
	v_sub_u32_e32 v33, v71, v33
	v_xor_b32_e32 v40, s84, v40
	v_cndmask_b32_e32 v46, v46, v48, vcc
	v_mul_lo_u32 v48, v55, s81
	v_sub_u32_e32 v48, v82, v48
	v_subrev_u32_e32 v50, s81, v48
	v_cmp_le_u32_e32 vcc, s81, v48
	.loc	1 86 26                         ; int8_utils_aot.py:86:26
	v_ashrrev_i32_e32 v55, 31, v38
	v_max_i32_e32 v38, v56, v38
	.loc	1 80 68                         ; int8_utils_aot.py:80:68
	v_cndmask_b32_e32 v48, v48, v50, vcc
	v_subrev_u32_e32 v50, s81, v48
	v_cmp_le_u32_e32 vcc, s81, v48
	.loc	1 86 26                         ; int8_utils_aot.py:86:26
	v_mul_lo_u32 v56, s23, v54
	v_mul_hi_u32 v56, v54, v56
	.loc	1 80 68                         ; int8_utils_aot.py:80:68
	v_cndmask_b32_e32 v48, v48, v50, vcc
	v_mul_lo_u32 v50, v53, s81
	v_sub_u32_e32 v50, v81, v50
	v_subrev_u32_e32 v52, s81, v50
	v_cmp_le_u32_e32 vcc, s81, v50
	.loc	1 86 26                         ; int8_utils_aot.py:86:26
	v_add_u32_e32 v54, v54, v56
	v_mul_hi_u32 v56, v38, v54
	.loc	1 80 68                         ; int8_utils_aot.py:80:68
	v_cndmask_b32_e32 v50, v50, v52, vcc
	v_subrev_u32_e32 v52, s81, v50
	v_cmp_le_u32_e32 vcc, s81, v50
	.loc	1 86 26                         ; int8_utils_aot.py:86:26
	v_mul_lo_u32 v57, v56, s22
	v_sub_u32_e32 v38, v38, v57
	.loc	1 80 68                         ; int8_utils_aot.py:80:68
	v_cndmask_b32_e32 v50, v50, v52, vcc
	v_subrev_u32_e32 v52, s81, v51
	v_cmp_le_u32_e32 vcc, s81, v51
	.loc	1 86 26                         ; int8_utils_aot.py:86:26
	v_add_u32_e32 v57, 1, v56
	s_ashr_i32 s15, s15, 31
	.loc	1 80 68                         ; int8_utils_aot.py:80:68
	v_cndmask_b32_e32 v51, v51, v52, vcc
	v_subrev_u32_e32 v52, s81, v51
	v_cmp_le_u32_e32 vcc, s81, v51
	v_subrev_u32_e32 v40, s84, v40
	.loc	1 86 26                         ; int8_utils_aot.py:86:26
	v_xor_b32_e32 v55, s15, v55
	.loc	1 80 68                         ; int8_utils_aot.py:80:68
	v_cndmask_b32_e32 v51, v51, v52, vcc
	v_subrev_u32_e32 v52, s81, v49
	v_cmp_le_u32_e32 vcc, s81, v49
	v_xor_b32_e32 v42, s84, v42
	v_subrev_u32_e32 v42, s84, v42
	v_cndmask_b32_e32 v49, v49, v52, vcc
	v_subrev_u32_e32 v52, s81, v49
	v_cmp_le_u32_e32 vcc, s81, v49
	v_xor_b32_e32 v44, s84, v44
	v_subrev_u32_e32 v44, s84, v44
	v_cndmask_b32_e32 v49, v49, v52, vcc
	v_subrev_u32_e32 v52, s81, v47
	v_cmp_le_u32_e32 vcc, s81, v47
	v_xor_b32_e32 v46, s84, v46
	v_subrev_u32_e32 v46, s84, v46
	v_cndmask_b32_e32 v47, v47, v52, vcc
	v_subrev_u32_e32 v52, s81, v47
	v_cmp_le_u32_e32 vcc, s81, v47
	v_xor_b32_e32 v48, s84, v48
	v_subrev_u32_e32 v48, s84, v48
	v_cndmask_b32_e32 v47, v47, v52, vcc
	v_subrev_u32_e32 v52, s81, v45
	v_cmp_le_u32_e32 vcc, s81, v45
	v_xor_b32_e32 v50, s84, v50
	v_subrev_u32_e32 v50, s84, v50
	v_cndmask_b32_e32 v45, v45, v52, vcc
	v_subrev_u32_e32 v52, s81, v45
	v_cmp_le_u32_e32 vcc, s81, v45
	v_xor_b32_e32 v51, s84, v51
	v_subrev_u32_e32 v51, s84, v51
	v_cndmask_b32_e32 v45, v45, v52, vcc
	v_subrev_u32_e32 v52, s81, v43
	v_cmp_le_u32_e32 vcc, s81, v43
	v_xor_b32_e32 v49, s84, v49
	v_subrev_u32_e32 v49, s84, v49
	v_cndmask_b32_e32 v43, v43, v52, vcc
	v_subrev_u32_e32 v52, s81, v43
	v_cmp_le_u32_e32 vcc, s81, v43
	v_xor_b32_e32 v47, s84, v47
	v_subrev_u32_e32 v47, s84, v47
	v_cndmask_b32_e32 v43, v43, v52, vcc
	v_subrev_u32_e32 v52, s81, v41
	v_cmp_le_u32_e32 vcc, s81, v41
	v_xor_b32_e32 v45, s84, v45
	v_subrev_u32_e32 v45, s84, v45
	v_cndmask_b32_e32 v41, v41, v52, vcc
	v_subrev_u32_e32 v52, s81, v41
	v_cmp_le_u32_e32 vcc, s81, v41
	v_xor_b32_e32 v43, s84, v43
	v_subrev_u32_e32 v43, s84, v43
	v_cndmask_b32_e32 v41, v41, v52, vcc
	v_subrev_u32_e32 v52, s81, v39
	v_cmp_le_u32_e32 vcc, s81, v39
	v_xor_b32_e32 v41, s84, v41
	v_subrev_u32_e32 v41, s84, v41
	v_cndmask_b32_e32 v39, v39, v52, vcc
	v_subrev_u32_e32 v52, s81, v39
	v_cmp_le_u32_e32 vcc, s81, v39
	v_xor_b32_e32 v71, 16, v1
	.loc	1 91 20                         ; int8_utils_aot.py:91:20
	v_add_u32_e32 v254, 0, v71
	.loc	1 80 68                         ; int8_utils_aot.py:80:68
	v_cndmask_b32_e32 v39, v39, v52, vcc
	v_subrev_u32_e32 v52, s81, v37
	v_cmp_le_u32_e32 vcc, s81, v37
	v_xor_b32_e32 v39, s84, v39
	v_subrev_u32_e32 v39, s84, v39
	v_cndmask_b32_e32 v37, v37, v52, vcc
	v_subrev_u32_e32 v52, s81, v37
	v_cmp_le_u32_e32 vcc, s81, v37
	v_xor_b32_e32 v71, 32, v1
	.loc	1 91 20                         ; int8_utils_aot.py:91:20
	s_waitcnt vmcnt(0)
	ds_write_b8 v254, v90 offset:16640
	ds_write_b8 v254, v94 offset:18688
	;; [unrolled: 1-line block ×4, first 2 shown]
	.loc	1 80 68                         ; int8_utils_aot.py:80:68
	v_cndmask_b32_e32 v37, v37, v52, vcc
	v_xor_b32_e32 v37, s84, v37
	v_subrev_u32_e32 v52, s84, v37
	v_subrev_u32_e32 v37, s81, v33
	v_cmp_le_u32_e32 vcc, s81, v33
	.loc	1 91 20                         ; int8_utils_aot.py:91:20
	v_add_u32_e32 v94, 0, v71
	v_xor_b32_e32 v71, 48, v1
	.loc	1 80 68                         ; int8_utils_aot.py:80:68
	v_cndmask_b32_e32 v33, v33, v37, vcc
	v_subrev_u32_e32 v37, s81, v33
	v_cmp_le_u32_e32 vcc, s81, v33
	.loc	1 91 20                         ; int8_utils_aot.py:91:20
	v_add_u32_e32 v93, 0, v1
	ds_write_b8 v94, v95 offset:16896
	ds_write_b8 v94, v102 offset:18944
	;; [unrolled: 1-line block ×4, first 2 shown]
	.loc	1 80 68                         ; int8_utils_aot.py:80:68
	v_cndmask_b32_e32 v33, v33, v37, vcc
	.loc	1 86 26                         ; int8_utils_aot.py:86:26
	v_cmp_le_u32_e32 vcc, s22, v38
	.loc	1 80 68                         ; int8_utils_aot.py:80:68
	v_xor_b32_e32 v33, s84, v33
	v_subrev_u32_e32 v53, s84, v33
	.loc	1 86 26                         ; int8_utils_aot.py:86:26
	v_cndmask_b32_e32 v56, v56, v57, vcc
	v_subrev_u32_e32 v57, s22, v38
	v_cndmask_b32_e32 v38, v38, v57, vcc
	v_add_u32_e32 v57, 1, v56
	v_cmp_le_u32_e32 vcc, s22, v38
	.loc	1 91 20                         ; int8_utils_aot.py:91:20
	v_add_u32_e32 v95, 0, v71
	v_xor_b32_e32 v71, 64, v1
	.loc	1 86 26                         ; int8_utils_aot.py:86:26
	v_cndmask_b32_e32 v38, v56, v57, vcc
	v_xor_b32_e32 v38, v38, v55
	v_sub_u32_e32 v56, 0, v40
	v_sub_u32_e32 v38, v38, v55
	v_ashrrev_i32_e32 v55, 31, v40
	v_max_i32_e32 v40, v56, v40
	v_mul_hi_u32 v56, v40, v54
	v_mul_lo_u32 v57, v56, s22
	v_sub_u32_e32 v40, v40, v57
	v_add_u32_e32 v57, 1, v56
	v_cmp_le_u32_e32 vcc, s22, v40
	v_xor_b32_e32 v55, s15, v55
	.loc	1 79 68                         ; int8_utils_aot.py:79:68
	v_xor_b32_e32 v32, s86, v32
	.loc	1 86 26                         ; int8_utils_aot.py:86:26
	v_cndmask_b32_e32 v56, v56, v57, vcc
	v_subrev_u32_e32 v57, s22, v40
	v_cndmask_b32_e32 v40, v40, v57, vcc
	v_add_u32_e32 v57, 1, v56
	v_cmp_le_u32_e32 vcc, s22, v40
	.loc	1 79 68                         ; int8_utils_aot.py:79:68
	v_xor_b32_e32 v36, s86, v36
	.loc	1 91 20                         ; int8_utils_aot.py:91:20
	ds_write_b8 v93, v91 offset:16384
	ds_write_b8 v93, v96 offset:18432
	ds_write_b8 v93, v164 offset:20480
	ds_write_b8 v93, v172 offset:22528
	.loc	1 86 26                         ; int8_utils_aot.py:86:26
	v_cndmask_b32_e32 v40, v56, v57, vcc
	v_xor_b32_e32 v40, v40, v55
	v_sub_u32_e32 v56, 0, v42
	v_sub_u32_e32 v40, v40, v55
	v_ashrrev_i32_e32 v55, 31, v42
	v_max_i32_e32 v42, v56, v42
	v_mul_hi_u32 v56, v42, v54
	v_mul_lo_u32 v57, v56, s22
	v_sub_u32_e32 v42, v42, v57
	v_add_u32_e32 v57, 1, v56
	v_cmp_le_u32_e32 vcc, s22, v42
	v_xor_b32_e32 v55, s15, v55
	.loc	1 91 20                         ; int8_utils_aot.py:91:20
	v_add_u32_e32 v96, 0, v71
	.loc	1 86 26                         ; int8_utils_aot.py:86:26
	v_cndmask_b32_e32 v56, v56, v57, vcc
	v_subrev_u32_e32 v57, s22, v42
	v_cndmask_b32_e32 v42, v42, v57, vcc
	v_add_u32_e32 v57, 1, v56
	v_cmp_le_u32_e32 vcc, s22, v42
	v_xor_b32_e32 v71, 0x50, v1
	.loc	1 79 68                         ; int8_utils_aot.py:79:68
	v_subrev_u32_e32 v32, s86, v32
	.loc	1 86 26                         ; int8_utils_aot.py:86:26
	v_cndmask_b32_e32 v42, v56, v57, vcc
	v_xor_b32_e32 v42, v42, v55
	v_sub_u32_e32 v56, 0, v44
	v_sub_u32_e32 v42, v42, v55
	v_ashrrev_i32_e32 v55, 31, v44
	v_max_i32_e32 v44, v56, v44
	v_mul_hi_u32 v56, v44, v54
	v_mul_lo_u32 v57, v56, s22
	v_sub_u32_e32 v44, v44, v57
	v_add_u32_e32 v57, 1, v56
	v_cmp_le_u32_e32 vcc, s22, v44
	v_xor_b32_e32 v55, s15, v55
	.loc	1 79 68                         ; int8_utils_aot.py:79:68
	v_subrev_u32_e32 v36, s86, v36
	.loc	1 86 26                         ; int8_utils_aot.py:86:26
	v_cndmask_b32_e32 v56, v56, v57, vcc
	v_subrev_u32_e32 v57, s22, v44
	v_cndmask_b32_e32 v44, v44, v57, vcc
	v_add_u32_e32 v57, 1, v56
	v_cmp_le_u32_e32 vcc, s22, v44
	.loc	1 91 20                         ; int8_utils_aot.py:91:20
	ds_write_b8 v96, v97 offset:17408
	ds_write_b8 v96, v104 offset:19456
	;; [unrolled: 1-line block ×4, first 2 shown]
	.loc	1 86 26                         ; int8_utils_aot.py:86:26
	v_cndmask_b32_e32 v44, v56, v57, vcc
	v_xor_b32_e32 v44, v44, v55
	v_sub_u32_e32 v56, 0, v46
	v_sub_u32_e32 v44, v44, v55
	v_ashrrev_i32_e32 v55, 31, v46
	v_max_i32_e32 v46, v56, v46
	v_mul_hi_u32 v56, v46, v54
	v_mul_lo_u32 v57, v56, s22
	v_sub_u32_e32 v46, v46, v57
	v_add_u32_e32 v57, 1, v56
	v_cmp_le_u32_e32 vcc, s22, v46
	v_xor_b32_e32 v55, s15, v55
	.loc	1 91 20                         ; int8_utils_aot.py:91:20
	v_add_u32_e32 v97, 0, v71
	.loc	1 86 26                         ; int8_utils_aot.py:86:26
	v_cndmask_b32_e32 v56, v56, v57, vcc
	v_subrev_u32_e32 v57, s22, v46
	v_cndmask_b32_e32 v46, v46, v57, vcc
	v_add_u32_e32 v57, 1, v56
	v_cmp_le_u32_e32 vcc, s22, v46
	v_xor_b32_e32 v71, 0x60, v1
	.loc	1 85 29                         ; int8_utils_aot.py:85:29
	s_waitcnt lgkmcnt(0)
	v_mul_lo_u32 v32, v32, s89
	.loc	1 86 26                         ; int8_utils_aot.py:86:26
	v_cndmask_b32_e32 v46, v56, v57, vcc
	v_xor_b32_e32 v46, v46, v55
	v_sub_u32_e32 v56, 0, v48
	v_sub_u32_e32 v46, v46, v55
	v_ashrrev_i32_e32 v55, 31, v48
	v_max_i32_e32 v48, v56, v48
	v_mul_hi_u32 v56, v48, v54
	v_mul_lo_u32 v57, v56, s22
	v_sub_u32_e32 v48, v48, v57
	v_add_u32_e32 v57, 1, v56
	v_cmp_le_u32_e32 vcc, s22, v48
	v_xor_b32_e32 v55, s15, v55
	.loc	1 85 29                         ; int8_utils_aot.py:85:29
	v_mul_lo_u32 v36, v36, s89
	.loc	1 86 26                         ; int8_utils_aot.py:86:26
	v_cndmask_b32_e32 v56, v56, v57, vcc
	v_subrev_u32_e32 v57, s22, v48
	v_cndmask_b32_e32 v48, v48, v57, vcc
	v_add_u32_e32 v57, 1, v56
	v_cmp_le_u32_e32 vcc, s22, v48
	.loc	1 87 30                         ; int8_utils_aot.py:87:30
	v_mul_lo_u32 v38, v38, s21
	v_mul_lo_u32 v40, v40, s21
	.loc	1 86 26                         ; int8_utils_aot.py:86:26
	v_cndmask_b32_e32 v48, v56, v57, vcc
	v_xor_b32_e32 v48, v48, v55
	v_sub_u32_e32 v56, 0, v50
	v_sub_u32_e32 v48, v48, v55
	v_ashrrev_i32_e32 v55, 31, v50
	v_max_i32_e32 v50, v56, v50
	v_mul_hi_u32 v56, v50, v54
	v_mul_lo_u32 v57, v56, s22
	v_sub_u32_e32 v50, v50, v57
	v_add_u32_e32 v57, 1, v56
	v_cmp_le_u32_e32 vcc, s22, v50
	v_xor_b32_e32 v55, s15, v55
	.loc	1 87 30                         ; int8_utils_aot.py:87:30
	v_mul_lo_u32 v42, v42, s21
	.loc	1 86 26                         ; int8_utils_aot.py:86:26
	v_cndmask_b32_e32 v56, v56, v57, vcc
	v_subrev_u32_e32 v57, s22, v50
	v_cndmask_b32_e32 v50, v50, v57, vcc
	v_add_u32_e32 v57, 1, v56
	v_cmp_le_u32_e32 vcc, s22, v50
	.loc	1 87 30                         ; int8_utils_aot.py:87:30
	v_mul_lo_u32 v44, v44, s21
	v_mul_lo_u32 v46, v46, s21
	.loc	1 86 26                         ; int8_utils_aot.py:86:26
	v_cndmask_b32_e32 v50, v56, v57, vcc
	v_xor_b32_e32 v50, v50, v55
	v_sub_u32_e32 v56, 0, v51
	v_sub_u32_e32 v50, v50, v55
	v_ashrrev_i32_e32 v55, 31, v51
	v_max_i32_e32 v51, v56, v51
	v_mul_hi_u32 v56, v51, v54
	v_mul_lo_u32 v57, v56, s22
	v_sub_u32_e32 v51, v51, v57
	v_add_u32_e32 v57, 1, v56
	v_cmp_le_u32_e32 vcc, s22, v51
	v_xor_b32_e32 v55, s15, v55
	.loc	1 87 30                         ; int8_utils_aot.py:87:30
	v_mul_lo_u32 v48, v48, s21
	.loc	1 86 26                         ; int8_utils_aot.py:86:26
	v_cndmask_b32_e32 v56, v56, v57, vcc
	v_subrev_u32_e32 v57, s22, v51
	v_cndmask_b32_e32 v51, v51, v57, vcc
	v_add_u32_e32 v57, 1, v56
	v_cmp_le_u32_e32 vcc, s22, v51
	.loc	1 87 30                         ; int8_utils_aot.py:87:30
	v_mul_lo_u32 v50, v50, s21
	.loc	1 91 20                         ; int8_utils_aot.py:91:20
	ds_write_b8 v97, v98 offset:17664
	ds_write_b8 v97, v103 offset:19712
	;; [unrolled: 1-line block ×4, first 2 shown]
	.loc	1 86 26                         ; int8_utils_aot.py:86:26
	v_cndmask_b32_e32 v51, v56, v57, vcc
	v_xor_b32_e32 v51, v51, v55
	v_sub_u32_e32 v56, 0, v49
	v_sub_u32_e32 v51, v51, v55
	v_ashrrev_i32_e32 v55, 31, v49
	v_max_i32_e32 v49, v56, v49
	v_mul_hi_u32 v56, v49, v54
	v_mul_lo_u32 v57, v56, s22
	v_sub_u32_e32 v49, v49, v57
	v_add_u32_e32 v57, 1, v56
	v_cmp_le_u32_e32 vcc, s22, v49
	v_xor_b32_e32 v55, s15, v55
	.loc	1 91 20                         ; int8_utils_aot.py:91:20
	v_add_u32_e32 v98, 0, v71
	.loc	1 86 26                         ; int8_utils_aot.py:86:26
	v_cndmask_b32_e32 v56, v56, v57, vcc
	v_subrev_u32_e32 v57, s22, v49
	v_cndmask_b32_e32 v49, v49, v57, vcc
	v_add_u32_e32 v57, 1, v56
	v_cmp_le_u32_e32 vcc, s22, v49
	v_xor_b32_e32 v1, 0x70, v1
	v_lshlrev_b32_e32 v73, 7, v70
	v_cndmask_b32_e32 v49, v56, v57, vcc
	v_xor_b32_e32 v49, v49, v55
	v_sub_u32_e32 v56, 0, v47
	v_sub_u32_e32 v49, v49, v55
	v_ashrrev_i32_e32 v55, 31, v47
	v_max_i32_e32 v47, v56, v47
	v_mul_hi_u32 v56, v47, v54
	v_mul_lo_u32 v57, v56, s22
	v_sub_u32_e32 v47, v47, v57
	v_add_u32_e32 v57, 1, v56
	v_cmp_le_u32_e32 vcc, s22, v47
	v_xor_b32_e32 v55, s15, v55
	v_accvgpr_read_b32 v70, a158
	v_cndmask_b32_e32 v56, v56, v57, vcc
	v_subrev_u32_e32 v57, s22, v47
	v_cndmask_b32_e32 v47, v47, v57, vcc
	v_add_u32_e32 v57, 1, v56
	v_cmp_le_u32_e32 vcc, s22, v47
	.loc	1 85 19                         ; int8_utils_aot.py:85:19
	v_ashrrev_i32_e32 v33, 31, v32
	v_ashrrev_i32_e32 v37, 31, v36
	.loc	1 86 26                         ; int8_utils_aot.py:86:26
	v_cndmask_b32_e32 v47, v56, v57, vcc
	v_xor_b32_e32 v47, v47, v55
	v_sub_u32_e32 v56, 0, v45
	v_sub_u32_e32 v47, v47, v55
	v_ashrrev_i32_e32 v55, 31, v45
	v_max_i32_e32 v45, v56, v45
	v_mul_hi_u32 v56, v45, v54
	v_mul_lo_u32 v57, v56, s22
	v_sub_u32_e32 v45, v45, v57
	v_add_u32_e32 v57, 1, v56
	v_cmp_le_u32_e32 vcc, s22, v45
	v_xor_b32_e32 v55, s15, v55
	s_mov_b32 s78, 0
	v_cndmask_b32_e32 v56, v56, v57, vcc
	v_subrev_u32_e32 v57, s22, v45
	v_cndmask_b32_e32 v45, v45, v57, vcc
	v_add_u32_e32 v57, 1, v56
	v_cmp_le_u32_e32 vcc, s22, v45
	.loc	1 91 20                         ; int8_utils_aot.py:91:20
	ds_write_b8 v98, v99 offset:17920
	ds_write_b8 v98, v162 offset:19968
	;; [unrolled: 1-line block ×4, first 2 shown]
	.loc	1 86 26                         ; int8_utils_aot.py:86:26
	v_cndmask_b32_e32 v45, v56, v57, vcc
	v_xor_b32_e32 v45, v45, v55
	v_sub_u32_e32 v56, 0, v43
	v_sub_u32_e32 v45, v45, v55
	v_ashrrev_i32_e32 v55, 31, v43
	v_max_i32_e32 v43, v56, v43
	v_mul_hi_u32 v56, v43, v54
	v_mul_lo_u32 v57, v56, s22
	v_sub_u32_e32 v43, v43, v57
	v_add_u32_e32 v57, 1, v56
	v_cmp_le_u32_e32 vcc, s22, v43
	v_xor_b32_e32 v55, s15, v55
	.loc	1 87 30                         ; int8_utils_aot.py:87:30
	v_mul_lo_u32 v58, v45, s21
	.loc	1 86 26                         ; int8_utils_aot.py:86:26
	v_cndmask_b32_e32 v56, v56, v57, vcc
	v_subrev_u32_e32 v57, s22, v43
	v_cndmask_b32_e32 v43, v43, v57, vcc
	v_add_u32_e32 v57, 1, v56
	v_cmp_le_u32_e32 vcc, s22, v43
	.loc	1 87 19                         ; int8_utils_aot.py:87:19
	v_ashrrev_i32_e32 v45, 31, v44
	v_ashrrev_i32_e32 v59, 31, v58
	.loc	1 86 26                         ; int8_utils_aot.py:86:26
	v_cndmask_b32_e32 v43, v56, v57, vcc
	v_xor_b32_e32 v43, v43, v55
	v_sub_u32_e32 v56, 0, v41
	v_sub_u32_e32 v43, v43, v55
	v_ashrrev_i32_e32 v55, 31, v41
	v_max_i32_e32 v41, v56, v41
	v_mul_hi_u32 v56, v41, v54
	v_mul_lo_u32 v57, v56, s22
	v_sub_u32_e32 v41, v41, v57
	v_add_u32_e32 v57, 1, v56
	v_cmp_le_u32_e32 vcc, s22, v41
	v_xor_b32_e32 v55, s15, v55
	.loc	1 87 30                         ; int8_utils_aot.py:87:30
	v_mul_lo_u32 v60, v43, s21
	.loc	1 86 26                         ; int8_utils_aot.py:86:26
	v_cndmask_b32_e32 v56, v56, v57, vcc
	v_subrev_u32_e32 v57, s22, v41
	v_cndmask_b32_e32 v41, v41, v57, vcc
	v_add_u32_e32 v57, 1, v56
	v_cmp_le_u32_e32 vcc, s22, v41
	.loc	1 87 19                         ; int8_utils_aot.py:87:19
	v_ashrrev_i32_e32 v43, 31, v42
	v_ashrrev_i32_e32 v61, 31, v60
	.loc	1 86 26                         ; int8_utils_aot.py:86:26
	v_cndmask_b32_e32 v41, v56, v57, vcc
	v_xor_b32_e32 v41, v41, v55
	v_sub_u32_e32 v56, 0, v39
	v_sub_u32_e32 v41, v41, v55
	v_ashrrev_i32_e32 v55, 31, v39
	v_max_i32_e32 v39, v56, v39
	v_mul_hi_u32 v56, v39, v54
	v_mul_lo_u32 v57, v56, s22
	v_sub_u32_e32 v39, v39, v57
	v_add_u32_e32 v57, 1, v56
	v_cmp_le_u32_e32 vcc, s22, v39
	v_xor_b32_e32 v55, s15, v55
	.loc	1 87 30                         ; int8_utils_aot.py:87:30
	v_mul_lo_u32 v62, v41, s21
	.loc	1 86 26                         ; int8_utils_aot.py:86:26
	v_cndmask_b32_e32 v56, v56, v57, vcc
	v_subrev_u32_e32 v57, s22, v39
	v_cndmask_b32_e32 v39, v39, v57, vcc
	v_add_u32_e32 v57, 1, v56
	v_cmp_le_u32_e32 vcc, s22, v39
	.loc	1 87 19                         ; int8_utils_aot.py:87:19
	v_ashrrev_i32_e32 v41, 31, v40
	v_ashrrev_i32_e32 v63, 31, v62
	.loc	1 86 26                         ; int8_utils_aot.py:86:26
	v_cndmask_b32_e32 v39, v56, v57, vcc
	v_xor_b32_e32 v39, v39, v55
	v_sub_u32_e32 v56, 0, v52
	v_sub_u32_e32 v39, v39, v55
	v_ashrrev_i32_e32 v55, 31, v52
	v_max_i32_e32 v52, v56, v52
	v_mul_hi_u32 v56, v52, v54
	v_mul_lo_u32 v57, v56, s22
	v_sub_u32_e32 v52, v52, v57
	v_add_u32_e32 v57, 1, v56
	v_cmp_le_u32_e32 vcc, s22, v52
	v_xor_b32_e32 v55, s15, v55
	.loc	1 87 30                         ; int8_utils_aot.py:87:30
	v_mul_lo_u32 v64, v39, s21
	.loc	1 86 26                         ; int8_utils_aot.py:86:26
	v_cndmask_b32_e32 v56, v56, v57, vcc
	v_subrev_u32_e32 v57, s22, v52
	v_cndmask_b32_e32 v52, v52, v57, vcc
	v_add_u32_e32 v57, 1, v56
	v_cmp_le_u32_e32 vcc, s22, v52
	.loc	1 87 19                         ; int8_utils_aot.py:87:19
	v_ashrrev_i32_e32 v39, 31, v38
	v_ashrrev_i32_e32 v65, 31, v64
	.loc	1 86 26                         ; int8_utils_aot.py:86:26
	v_cndmask_b32_e32 v52, v56, v57, vcc
	v_xor_b32_e32 v52, v52, v55
	v_sub_u32_e32 v56, 0, v53
	v_sub_u32_e32 v55, v52, v55
	v_ashrrev_i32_e32 v52, 31, v53
	v_max_i32_e32 v53, v56, v53
	v_mul_hi_u32 v54, v53, v54
	v_mul_lo_u32 v56, v54, s22
	v_sub_u32_e32 v53, v53, v56
	v_add_u32_e32 v56, 1, v54
	v_cmp_le_u32_e32 vcc, s22, v53
	v_xor_b32_e32 v52, s15, v52
	.loc	1 87 30                         ; int8_utils_aot.py:87:30
	v_mul_lo_u32 v66, v55, s21
	.loc	1 86 26                         ; int8_utils_aot.py:86:26
	v_cndmask_b32_e32 v54, v54, v56, vcc
	v_subrev_u32_e32 v56, s22, v53
	v_cndmask_b32_e32 v53, v53, v56, vcc
	v_add_u32_e32 v56, 1, v54
	v_cmp_le_u32_e32 vcc, s22, v53
	.loc	1 87 19                         ; int8_utils_aot.py:87:19
	v_ashrrev_i32_e32 v67, 31, v66
	.loc	1 91 20                         ; int8_utils_aot.py:91:20
	v_add_u32_e32 v99, 0, v1
	.loc	1 86 26                         ; int8_utils_aot.py:86:26
	v_cndmask_b32_e32 v53, v54, v56, vcc
	v_xor_b32_e32 v53, v53, v52
	v_sub_u32_e32 v53, v53, v52
	.loc	1 87 30                         ; int8_utils_aot.py:87:30
	v_mul_lo_u32 v52, v51, s21
	v_mul_lo_u32 v54, v49, s21
	;; [unrolled: 1-line block ×4, first 2 shown]
	.loc	1 87 19 is_stmt 0               ; int8_utils_aot.py:87:19
	v_ashrrev_i32_e32 v47, 31, v46
	v_ashrrev_i32_e32 v49, 31, v48
	;; [unrolled: 1-line block ×7, first 2 shown]
	.loc	1 90 22 is_stmt 1               ; int8_utils_aot.py:90:22
	s_cmpk_gt_i32 s94, 0xff
	v_lshlrev_b32_e32 v1, 3, v0
	v_lshrrev_b32_e32 v74, 1, v70
	v_lshlrev_b32_e32 v70, 6, v0
	v_lshlrev_b32_e32 v72, 2, v0
	v_and_b32_e32 v71, 16, v0
	.loc	1 91 20                         ; int8_utils_aot.py:91:20
	ds_write_b8 v95, v92 offset:17152
	ds_write_b8 v95, v101 offset:19200
	;; [unrolled: 1-line block ×8, first 2 shown]
	.loc	1 92 20                         ; int8_utils_aot.py:92:20
	ds_write_b8 v93, v179
	ds_write_b8 v93, v187 offset:2048
	ds_write_b8 v93, v195 offset:4096
	;; [unrolled: 1-line block ×63, first 2 shown]
	.loc	1 90 22                         ; int8_utils_aot.py:90:22
	s_cbranch_scc1 .LBB0_258
; %bb.257:                              ; %.._crit_edge_crit_edge
	.loc	1 91 20                         ; int8_utils_aot.py:91:20
	v_and_b32_e32 v76, 0x70, v1
	v_bitop3_b32 v78, v73, v74, v76 bitop3:0x36
	.loc	1 92 20                         ; int8_utils_aot.py:92:20
	v_and_b32_e32 v76, 48, v72
	s_movk_i32 s15, 0xb80
	v_and_or_b32 v76, v70, s15, v76
	v_and_b32_e32 v77, 8, v1
	v_bitop3_b32 v76, s18, v76, v71 bitop3:0x36
	s_movk_i32 s15, 0x440
	.loc	1 91 20                         ; int8_utils_aot.py:91:20
	v_xor_b32_e32 v79, 32, v78
	v_xor_b32_e32 v80, 64, v78
	;; [unrolled: 1-line block ×3, first 2 shown]
	.loc	1 92 20                         ; int8_utils_aot.py:92:20
	v_or_b32_e32 v83, v76, v77
	v_bitop3_b32 v82, v76, s15, v77 bitop3:0x36
	s_mov_b64 s[22:23], 0
	s_branch .LBB0_259
.LBB0_258:
	.loc	1 0 20 is_stmt 0                ; int8_utils_aot.py:0:20
	s_mov_b64 s[22:23], -1
                                        ; implicit-def: $vgpr78
                                        ; implicit-def: $vgpr79
                                        ; implicit-def: $vgpr80
                                        ; implicit-def: $vgpr81
                                        ; implicit-def: $vgpr83
                                        ; implicit-def: $vgpr82
.LBB0_259:                              ; %Flow1299
	v_lshl_add_u64 v[196:197], v[32:33], 2, s[8:9]
	v_lshl_add_u64 v[194:195], v[36:37], 2, s[8:9]
	s_load_dword s86, s[0:1], 0x38
	s_load_dwordx2 s[8:9], s[0:1], 0x58
	v_lshl_add_u64 v[192:193], v[38:39], 2, s[10:11]
	v_lshl_add_u64 v[190:191], v[40:41], 2, s[10:11]
	;; [unrolled: 1-line block ×16, first 2 shown]
	s_andn2_b64 vcc, exec, s[22:23]
	v_mov_b32_e32 v33, 0
	v_mov_b32_e32 v32, 0
	v_mov_b32_e32 v199, 0
	v_mov_b32_e32 v198, 0
	v_mov_b32_e32 v201, 0
	v_mov_b32_e32 v200, 0
	v_mov_b32_e32 v203, 0
	v_mov_b32_e32 v202, 0
	v_mov_b32_e32 v205, 0
	v_mov_b32_e32 v204, 0
	v_mov_b32_e32 v207, 0
	v_mov_b32_e32 v206, 0
	v_mov_b32_e32 v209, 0
	v_mov_b32_e32 v208, 0
	v_mov_b32_e32 v211, 0
	v_mov_b32_e32 v210, 0
	v_mov_b32_e32 v213, 0
	v_mov_b32_e32 v212, 0
	v_mov_b32_e32 v215, 0
	v_mov_b32_e32 v214, 0
	v_mov_b32_e32 v217, 0
	v_mov_b32_e32 v216, 0
	v_mov_b32_e32 v219, 0
	v_mov_b32_e32 v218, 0
	v_mov_b32_e32 v221, 0
	v_mov_b32_e32 v220, 0
	v_mov_b32_e32 v223, 0
	v_mov_b32_e32 v222, 0
	v_mov_b32_e32 v225, 0
	v_mov_b32_e32 v224, 0
	v_mov_b32_e32 v227, 0
	v_mov_b32_e32 v226, 0
	s_cbranch_vccnz .LBB0_651
; %bb.260:                              ; %.lr.ph
	.loc	1 100 33 is_stmt 1              ; int8_utils_aot.py:100:33
	s_lshl_b32 s10, s19, 7
	.loc	1 91 55                         ; int8_utils_aot.py:91:55
	s_add_i32 s15, s14, 0xffffff80
	s_mov_b32 s84, s99
	s_ashr_i32 s11, s10, 31
	.loc	1 91 51 is_stmt 0               ; int8_utils_aot.py:91:51
	v_cmp_gt_u32_e32 vcc, s15, v75
	v_mov_b32_e32 v53, 0
	v_mov_b32_e32 v92, 0
	.loc	1 91 20                         ; int8_utils_aot.py:91:20
	s_and_saveexec_b64 s[22:23], vcc
	s_cbranch_execz .LBB0_262
; %bb.261:
	.loc	1 100 18 is_stmt 1              ; int8_utils_aot.py:100:18
	v_lshl_add_u64 v[32:33], v[106:107], 0, s[10:11]
	.loc	1 91 20                         ; int8_utils_aot.py:91:20
	global_load_ubyte v92, v[32:33], off
.LBB0_262:
	.loc	1 0 20 is_stmt 0                ; int8_utils_aot.py:0:20
	s_or_b64 exec, exec, s[22:23]
	.loc	1 91 20                         ; int8_utils_aot.py:91:20
	s_and_saveexec_b64 s[22:23], vcc
	s_cbranch_execz .LBB0_264
; %bb.263:
	.loc	1 100 18 is_stmt 1              ; int8_utils_aot.py:100:18
	v_lshl_add_u64 v[32:33], v[108:109], 0, s[10:11]
	.loc	1 91 20                         ; int8_utils_aot.py:91:20
	global_load_ubyte v53, v[32:33], off
.LBB0_264:
	.loc	1 0 20 is_stmt 0                ; int8_utils_aot.py:0:20
	s_or_b64 exec, exec, s[22:23]
	v_accvgpr_write_b32 a0, 0
	v_accvgpr_write_b32 a1, 0
	.loc	1 91 20                         ; int8_utils_aot.py:91:20
	s_and_saveexec_b64 s[22:23], vcc
	s_cbranch_execz .LBB0_266
; %bb.265:
	.loc	1 100 18 is_stmt 1              ; int8_utils_aot.py:100:18
	v_lshl_add_u64 v[32:33], v[110:111], 0, s[10:11]
	.loc	1 91 20                         ; int8_utils_aot.py:91:20
	global_load_ubyte a1, v[32:33], off
.LBB0_266:
	.loc	1 0 20 is_stmt 0                ; int8_utils_aot.py:0:20
	s_or_b64 exec, exec, s[22:23]
	.loc	1 91 20                         ; int8_utils_aot.py:91:20
	s_and_saveexec_b64 s[22:23], vcc
	s_cbranch_execz .LBB0_268
; %bb.267:
	.loc	1 100 18 is_stmt 1              ; int8_utils_aot.py:100:18
	v_lshl_add_u64 v[32:33], v[112:113], 0, s[10:11]
	.loc	1 91 20                         ; int8_utils_aot.py:91:20
	global_load_ubyte a0, v[32:33], off
.LBB0_268:
	.loc	1 0 20 is_stmt 0                ; int8_utils_aot.py:0:20
	s_or_b64 exec, exec, s[22:23]
	v_accvgpr_write_b32 a2, 0
	v_accvgpr_write_b32 a3, 0
	.loc	1 91 20                         ; int8_utils_aot.py:91:20
	s_and_saveexec_b64 s[22:23], vcc
	s_cbranch_execz .LBB0_270
; %bb.269:
	.loc	1 0 20                          ; int8_utils_aot.py:0:20
	v_accvgpr_read_b32 v33, a17
	v_accvgpr_read_b32 v32, a16
	.loc	1 100 18 is_stmt 1              ; int8_utils_aot.py:100:18
	v_lshl_add_u64 v[32:33], v[32:33], 0, s[10:11]
	.loc	1 91 20                         ; int8_utils_aot.py:91:20
	global_load_ubyte a3, v[32:33], off
.LBB0_270:
	.loc	1 0 20 is_stmt 0                ; int8_utils_aot.py:0:20
	s_or_b64 exec, exec, s[22:23]
	.loc	1 91 20                         ; int8_utils_aot.py:91:20
	s_and_saveexec_b64 s[22:23], vcc
	s_cbranch_execz .LBB0_272
; %bb.271:
	.loc	1 0 20                          ; int8_utils_aot.py:0:20
	v_accvgpr_read_b32 v33, a19
	v_accvgpr_read_b32 v32, a18
	.loc	1 100 18 is_stmt 1              ; int8_utils_aot.py:100:18
	v_lshl_add_u64 v[32:33], v[32:33], 0, s[10:11]
	.loc	1 91 20                         ; int8_utils_aot.py:91:20
	global_load_ubyte a2, v[32:33], off
.LBB0_272:
	.loc	1 0 20 is_stmt 0                ; int8_utils_aot.py:0:20
	s_or_b64 exec, exec, s[22:23]
	v_accvgpr_write_b32 a4, 0
	v_accvgpr_write_b32 a5, 0
	.loc	1 91 20                         ; int8_utils_aot.py:91:20
	s_and_saveexec_b64 s[22:23], vcc
	s_cbranch_execz .LBB0_274
; %bb.273:
	.loc	1 0 20                          ; int8_utils_aot.py:0:20
	v_accvgpr_read_b32 v33, a21
	v_accvgpr_read_b32 v32, a20
	.loc	1 100 18 is_stmt 1              ; int8_utils_aot.py:100:18
	v_lshl_add_u64 v[32:33], v[32:33], 0, s[10:11]
	.loc	1 91 20                         ; int8_utils_aot.py:91:20
	global_load_ubyte a5, v[32:33], off
.LBB0_274:
	.loc	1 0 20 is_stmt 0                ; int8_utils_aot.py:0:20
	s_or_b64 exec, exec, s[22:23]
	.loc	1 91 20                         ; int8_utils_aot.py:91:20
	s_and_saveexec_b64 s[22:23], vcc
	s_cbranch_execz .LBB0_276
; %bb.275:
	.loc	1 0 20                          ; int8_utils_aot.py:0:20
	v_accvgpr_read_b32 v33, a23
	v_accvgpr_read_b32 v32, a22
	.loc	1 100 18 is_stmt 1              ; int8_utils_aot.py:100:18
	v_lshl_add_u64 v[32:33], v[32:33], 0, s[10:11]
	.loc	1 91 20                         ; int8_utils_aot.py:91:20
	global_load_ubyte a4, v[32:33], off
.LBB0_276:
	;; [unrolled: 30-line block ×14, first 2 shown]
	.loc	1 0 20 is_stmt 0                ; int8_utils_aot.py:0:20
	s_or_b64 exec, exec, s[22:23]
	v_and_b32_e32 v32, 0x70, v1
	v_bitop3_b32 v32, v73, v74, v32 bitop3:0x36
	v_xor_b32_e32 v33, 32, v32
	v_xor_b32_e32 v36, 64, v32
	;; [unrolled: 1-line block ×3, first 2 shown]
	.loc	1 91 20                         ; int8_utils_aot.py:91:20
	v_add_u32_e32 v100, 0, v32
	v_add_u32_e32 v101, 0, v33
	;; [unrolled: 1-line block ×4, first 2 shown]
	s_waitcnt lgkmcnt(0)
	s_barrier
	ds_read_b128 v[76:79], v100 offset:16384
	ds_read_b128 v[62:65], v100 offset:20480
	;; [unrolled: 1-line block ×8, first 2 shown]
	.loc	1 101 33 is_stmt 1              ; int8_utils_aot.py:101:33
	s_lshl_b32 s20, s20, 7
	s_ashr_i32 s21, s20, 31
	v_accvgpr_write_b32 a159, v32
	v_accvgpr_write_b32 a210, v33
	;; [unrolled: 1-line block ×4, first 2 shown]
	.loc	1 92 51                         ; int8_utils_aot.py:92:51
	s_cmp_ge_u32 s26, s15
	.loc	1 92 20 is_stmt 0               ; int8_utils_aot.py:92:20
	s_cbranch_scc1 .LBB0_389
; %bb.325:
	.loc	1 0 20                          ; int8_utils_aot.py:0:20
	v_accvgpr_read_b32 v32, a70
	v_accvgpr_read_b32 v33, a71
	.loc	1 101 18 is_stmt 1              ; int8_utils_aot.py:101:18
	v_lshl_add_u64 v[32:33], v[32:33], 0, s[20:21]
	.loc	1 92 20                         ; int8_utils_aot.py:92:20
	global_load_ubyte v73, v[32:33], off
	.loc	1 92 51 is_stmt 0               ; int8_utils_aot.py:92:51
	s_cmp_ge_u32 s27, s15
	.loc	1 92 20                         ; int8_utils_aot.py:92:20
	s_cbranch_scc0 .LBB0_390
.LBB0_326:
	.loc	1 0 20                          ; int8_utils_aot.py:0:20
	v_mov_b32_e32 v74, 0
	.loc	1 92 51                         ; int8_utils_aot.py:92:51
	s_cmp_ge_u32 s28, s15
	.loc	1 92 20                         ; int8_utils_aot.py:92:20
	s_cbranch_scc0 .LBB0_391
.LBB0_327:
	.loc	1 0 20                          ; int8_utils_aot.py:0:20
	v_accvgpr_write_b32 a30, 0
	.loc	1 92 51                         ; int8_utils_aot.py:92:51
	s_cmp_ge_u32 s29, s15
	.loc	1 92 20                         ; int8_utils_aot.py:92:20
	s_cbranch_scc0 .LBB0_392
.LBB0_328:
	.loc	1 0 20                          ; int8_utils_aot.py:0:20
	v_accvgpr_write_b32 a31, 0
	.loc	1 92 51                         ; int8_utils_aot.py:92:51
	s_cmp_ge_u32 s30, s15
	.loc	1 92 20                         ; int8_utils_aot.py:92:20
	s_cbranch_scc0 .LBB0_393
.LBB0_329:
	.loc	1 0 20                          ; int8_utils_aot.py:0:20
	v_accvgpr_write_b32 a32, 0
	.loc	1 92 51                         ; int8_utils_aot.py:92:51
	s_cmp_ge_u32 s31, s15
	.loc	1 92 20                         ; int8_utils_aot.py:92:20
	s_cbranch_scc0 .LBB0_394
.LBB0_330:
	.loc	1 0 20                          ; int8_utils_aot.py:0:20
	v_accvgpr_write_b32 a33, 0
	.loc	1 92 51                         ; int8_utils_aot.py:92:51
	s_cmp_ge_u32 s34, s15
	.loc	1 92 20                         ; int8_utils_aot.py:92:20
	s_cbranch_scc0 .LBB0_395
.LBB0_331:
	.loc	1 0 20                          ; int8_utils_aot.py:0:20
	v_accvgpr_write_b32 a34, 0
	.loc	1 92 51                         ; int8_utils_aot.py:92:51
	s_cmp_ge_u32 s35, s15
	.loc	1 92 20                         ; int8_utils_aot.py:92:20
	s_cbranch_scc0 .LBB0_396
.LBB0_332:
	.loc	1 0 20                          ; int8_utils_aot.py:0:20
	v_accvgpr_write_b32 a35, 0
	.loc	1 92 51                         ; int8_utils_aot.py:92:51
	s_cmp_ge_u32 s36, s15
	.loc	1 92 20                         ; int8_utils_aot.py:92:20
	s_cbranch_scc0 .LBB0_397
.LBB0_333:
	.loc	1 0 20                          ; int8_utils_aot.py:0:20
	v_accvgpr_write_b32 a36, 0
	.loc	1 92 51                         ; int8_utils_aot.py:92:51
	s_cmp_ge_u32 s37, s15
	.loc	1 92 20                         ; int8_utils_aot.py:92:20
	s_cbranch_scc0 .LBB0_398
.LBB0_334:
	.loc	1 0 20                          ; int8_utils_aot.py:0:20
	v_accvgpr_write_b32 a37, 0
	.loc	1 92 51                         ; int8_utils_aot.py:92:51
	s_cmp_ge_u32 s38, s15
	.loc	1 92 20                         ; int8_utils_aot.py:92:20
	s_cbranch_scc0 .LBB0_399
.LBB0_335:
	.loc	1 0 20                          ; int8_utils_aot.py:0:20
	v_accvgpr_write_b32 a38, 0
	.loc	1 92 51                         ; int8_utils_aot.py:92:51
	s_cmp_ge_u32 s39, s15
	.loc	1 92 20                         ; int8_utils_aot.py:92:20
	s_cbranch_scc0 .LBB0_400
.LBB0_336:
	.loc	1 0 20                          ; int8_utils_aot.py:0:20
	v_accvgpr_write_b32 a39, 0
	.loc	1 92 51                         ; int8_utils_aot.py:92:51
	s_cmp_ge_u32 s40, s15
	.loc	1 92 20                         ; int8_utils_aot.py:92:20
	s_cbranch_scc0 .LBB0_401
.LBB0_337:
	.loc	1 0 20                          ; int8_utils_aot.py:0:20
	v_accvgpr_write_b32 a40, 0
	.loc	1 92 51                         ; int8_utils_aot.py:92:51
	s_cmp_ge_u32 s41, s15
	.loc	1 92 20                         ; int8_utils_aot.py:92:20
	s_cbranch_scc0 .LBB0_402
.LBB0_338:
	.loc	1 0 20                          ; int8_utils_aot.py:0:20
	v_accvgpr_write_b32 a41, 0
	.loc	1 92 51                         ; int8_utils_aot.py:92:51
	s_cmp_ge_u32 s42, s15
	.loc	1 92 20                         ; int8_utils_aot.py:92:20
	s_cbranch_scc0 .LBB0_403
.LBB0_339:
	.loc	1 0 20                          ; int8_utils_aot.py:0:20
	v_accvgpr_write_b32 a42, 0
	.loc	1 92 51                         ; int8_utils_aot.py:92:51
	s_cmp_ge_u32 s43, s15
	.loc	1 92 20                         ; int8_utils_aot.py:92:20
	s_cbranch_scc0 .LBB0_404
.LBB0_340:
	.loc	1 0 20                          ; int8_utils_aot.py:0:20
	v_accvgpr_write_b32 a43, 0
	.loc	1 92 51                         ; int8_utils_aot.py:92:51
	s_cmp_ge_u32 s44, s15
	.loc	1 92 20                         ; int8_utils_aot.py:92:20
	s_cbranch_scc0 .LBB0_405
.LBB0_341:
	.loc	1 0 20                          ; int8_utils_aot.py:0:20
	v_accvgpr_write_b32 a44, 0
	.loc	1 92 51                         ; int8_utils_aot.py:92:51
	s_cmp_ge_u32 s45, s15
	.loc	1 92 20                         ; int8_utils_aot.py:92:20
	s_cbranch_scc0 .LBB0_406
.LBB0_342:
	.loc	1 0 20                          ; int8_utils_aot.py:0:20
	v_accvgpr_write_b32 a45, 0
	.loc	1 92 51                         ; int8_utils_aot.py:92:51
	s_cmp_ge_u32 s46, s15
	.loc	1 92 20                         ; int8_utils_aot.py:92:20
	s_cbranch_scc0 .LBB0_407
.LBB0_343:
	.loc	1 0 20                          ; int8_utils_aot.py:0:20
	v_accvgpr_write_b32 a46, 0
	.loc	1 92 51                         ; int8_utils_aot.py:92:51
	s_cmp_ge_u32 s47, s15
	.loc	1 92 20                         ; int8_utils_aot.py:92:20
	s_cbranch_scc0 .LBB0_408
.LBB0_344:
	.loc	1 0 20                          ; int8_utils_aot.py:0:20
	v_accvgpr_write_b32 a47, 0
	.loc	1 92 51                         ; int8_utils_aot.py:92:51
	s_cmp_ge_u32 s48, s15
	.loc	1 92 20                         ; int8_utils_aot.py:92:20
	s_cbranch_scc0 .LBB0_409
.LBB0_345:
	.loc	1 0 20                          ; int8_utils_aot.py:0:20
	v_accvgpr_write_b32 a48, 0
	.loc	1 92 51                         ; int8_utils_aot.py:92:51
	s_cmp_ge_u32 s49, s15
	.loc	1 92 20                         ; int8_utils_aot.py:92:20
	s_cbranch_scc0 .LBB0_410
.LBB0_346:
	.loc	1 0 20                          ; int8_utils_aot.py:0:20
	v_accvgpr_write_b32 a49, 0
	.loc	1 92 51                         ; int8_utils_aot.py:92:51
	s_cmp_ge_u32 s50, s15
	.loc	1 92 20                         ; int8_utils_aot.py:92:20
	s_cbranch_scc0 .LBB0_411
.LBB0_347:
	.loc	1 0 20                          ; int8_utils_aot.py:0:20
	v_accvgpr_write_b32 a50, 0
	.loc	1 92 51                         ; int8_utils_aot.py:92:51
	s_cmp_ge_u32 s51, s15
	.loc	1 92 20                         ; int8_utils_aot.py:92:20
	s_cbranch_scc0 .LBB0_412
.LBB0_348:
	.loc	1 0 20                          ; int8_utils_aot.py:0:20
	v_accvgpr_write_b32 a51, 0
	.loc	1 92 51                         ; int8_utils_aot.py:92:51
	s_cmp_ge_u32 s52, s15
	.loc	1 92 20                         ; int8_utils_aot.py:92:20
	s_cbranch_scc0 .LBB0_413
.LBB0_349:
	.loc	1 0 20                          ; int8_utils_aot.py:0:20
	v_accvgpr_write_b32 a52, 0
	.loc	1 92 51                         ; int8_utils_aot.py:92:51
	s_cmp_ge_u32 s53, s15
	.loc	1 92 20                         ; int8_utils_aot.py:92:20
	s_cbranch_scc0 .LBB0_414
.LBB0_350:
	.loc	1 0 20                          ; int8_utils_aot.py:0:20
	v_accvgpr_write_b32 a53, 0
	.loc	1 92 51                         ; int8_utils_aot.py:92:51
	s_cmp_ge_u32 s54, s15
	.loc	1 92 20                         ; int8_utils_aot.py:92:20
	s_cbranch_scc0 .LBB0_415
.LBB0_351:
	.loc	1 0 20                          ; int8_utils_aot.py:0:20
	v_accvgpr_write_b32 a54, 0
	.loc	1 92 51                         ; int8_utils_aot.py:92:51
	s_cmp_ge_u32 s55, s15
	.loc	1 92 20                         ; int8_utils_aot.py:92:20
	s_cbranch_scc0 .LBB0_416
.LBB0_352:
	.loc	1 0 20                          ; int8_utils_aot.py:0:20
	v_accvgpr_write_b32 a55, 0
	.loc	1 92 51                         ; int8_utils_aot.py:92:51
	s_cmp_ge_u32 s56, s15
	.loc	1 92 20                         ; int8_utils_aot.py:92:20
	s_cbranch_scc0 .LBB0_417
.LBB0_353:
	.loc	1 0 20                          ; int8_utils_aot.py:0:20
	v_accvgpr_write_b32 a56, 0
	.loc	1 92 51                         ; int8_utils_aot.py:92:51
	s_cmp_ge_u32 s57, s15
	.loc	1 92 20                         ; int8_utils_aot.py:92:20
	s_cbranch_scc0 .LBB0_418
.LBB0_354:
	.loc	1 0 20                          ; int8_utils_aot.py:0:20
	v_accvgpr_write_b32 a57, 0
	.loc	1 92 51                         ; int8_utils_aot.py:92:51
	s_cmp_ge_u32 s58, s15
	.loc	1 92 20                         ; int8_utils_aot.py:92:20
	s_cbranch_scc0 .LBB0_419
.LBB0_355:
	.loc	1 0 20                          ; int8_utils_aot.py:0:20
	v_accvgpr_write_b32 a58, 0
	.loc	1 92 51                         ; int8_utils_aot.py:92:51
	s_cmp_ge_u32 s59, s15
	.loc	1 92 20                         ; int8_utils_aot.py:92:20
	s_cbranch_scc0 .LBB0_420
.LBB0_356:
	.loc	1 0 20                          ; int8_utils_aot.py:0:20
	v_accvgpr_write_b32 a59, 0
	.loc	1 92 51                         ; int8_utils_aot.py:92:51
	s_cmp_ge_u32 s24, s15
	.loc	1 92 20                         ; int8_utils_aot.py:92:20
	s_cbranch_scc0 .LBB0_421
.LBB0_357:
	.loc	1 0 20                          ; int8_utils_aot.py:0:20
	v_accvgpr_write_b32 a60, 0
	.loc	1 92 51                         ; int8_utils_aot.py:92:51
	s_cmp_ge_u32 s25, s15
	.loc	1 92 20                         ; int8_utils_aot.py:92:20
	s_cbranch_scc0 .LBB0_422
.LBB0_358:
	.loc	1 0 20                          ; int8_utils_aot.py:0:20
	v_accvgpr_write_b32 a61, 0
	.loc	1 92 51                         ; int8_utils_aot.py:92:51
	s_cmp_ge_u32 s60, s15
	.loc	1 92 20                         ; int8_utils_aot.py:92:20
	s_cbranch_scc0 .LBB0_423
.LBB0_359:
	.loc	1 0 20                          ; int8_utils_aot.py:0:20
	v_accvgpr_write_b32 a62, 0
	.loc	1 92 51                         ; int8_utils_aot.py:92:51
	s_cmp_ge_u32 s61, s15
	.loc	1 92 20                         ; int8_utils_aot.py:92:20
	s_cbranch_scc0 .LBB0_424
.LBB0_360:
	.loc	1 0 20                          ; int8_utils_aot.py:0:20
	v_accvgpr_write_b32 a63, 0
	.loc	1 92 51                         ; int8_utils_aot.py:92:51
	s_cmp_ge_u32 s62, s15
	.loc	1 92 20                         ; int8_utils_aot.py:92:20
	s_cbranch_scc0 .LBB0_425
.LBB0_361:
	.loc	1 0 20                          ; int8_utils_aot.py:0:20
	v_accvgpr_write_b32 a64, 0
	.loc	1 92 51                         ; int8_utils_aot.py:92:51
	s_cmp_ge_u32 s63, s15
	.loc	1 92 20                         ; int8_utils_aot.py:92:20
	s_cbranch_scc0 .LBB0_426
.LBB0_362:
	.loc	1 0 20                          ; int8_utils_aot.py:0:20
	v_accvgpr_write_b32 a65, 0
	.loc	1 92 51                         ; int8_utils_aot.py:92:51
	s_cmp_ge_u32 s64, s15
	.loc	1 92 20                         ; int8_utils_aot.py:92:20
	s_cbranch_scc0 .LBB0_427
.LBB0_363:
	.loc	1 0 20                          ; int8_utils_aot.py:0:20
	v_accvgpr_write_b32 a66, 0
	.loc	1 92 51                         ; int8_utils_aot.py:92:51
	s_cmp_ge_u32 s65, s15
	.loc	1 92 20                         ; int8_utils_aot.py:92:20
	s_cbranch_scc0 .LBB0_428
.LBB0_364:
	.loc	1 0 20                          ; int8_utils_aot.py:0:20
	v_mov_b32_e32 v228, 0
	.loc	1 92 51                         ; int8_utils_aot.py:92:51
	s_cmp_ge_u32 s66, s15
	.loc	1 92 20                         ; int8_utils_aot.py:92:20
	s_cbranch_scc0 .LBB0_429
.LBB0_365:
	.loc	1 0 20                          ; int8_utils_aot.py:0:20
	v_mov_b32_e32 v229, 0
	.loc	1 92 51                         ; int8_utils_aot.py:92:51
	s_cmp_ge_u32 s67, s15
	.loc	1 92 20                         ; int8_utils_aot.py:92:20
	s_cbranch_scc0 .LBB0_430
.LBB0_366:
	.loc	1 0 20                          ; int8_utils_aot.py:0:20
	v_mov_b32_e32 v230, 0
	.loc	1 92 51                         ; int8_utils_aot.py:92:51
	s_cmp_ge_u32 s68, s15
	.loc	1 92 20                         ; int8_utils_aot.py:92:20
	s_cbranch_scc0 .LBB0_431
.LBB0_367:
	.loc	1 0 20                          ; int8_utils_aot.py:0:20
	v_mov_b32_e32 v231, 0
	.loc	1 92 51                         ; int8_utils_aot.py:92:51
	s_cmp_ge_u32 s69, s15
	.loc	1 92 20                         ; int8_utils_aot.py:92:20
	s_cbranch_scc0 .LBB0_432
.LBB0_368:
	.loc	1 0 20                          ; int8_utils_aot.py:0:20
	v_mov_b32_e32 v232, 0
	.loc	1 92 51                         ; int8_utils_aot.py:92:51
	s_cmp_ge_u32 s70, s15
	.loc	1 92 20                         ; int8_utils_aot.py:92:20
	s_cbranch_scc0 .LBB0_433
.LBB0_369:
	.loc	1 0 20                          ; int8_utils_aot.py:0:20
	v_mov_b32_e32 v233, 0
	.loc	1 92 51                         ; int8_utils_aot.py:92:51
	s_cmp_ge_u32 s71, s15
	.loc	1 92 20                         ; int8_utils_aot.py:92:20
	s_cbranch_scc0 .LBB0_434
.LBB0_370:
	.loc	1 0 20                          ; int8_utils_aot.py:0:20
	v_mov_b32_e32 v234, 0
	.loc	1 92 51                         ; int8_utils_aot.py:92:51
	s_cmp_ge_u32 s73, s15
	.loc	1 92 20                         ; int8_utils_aot.py:92:20
	s_cbranch_scc0 .LBB0_435
.LBB0_371:
	.loc	1 0 20                          ; int8_utils_aot.py:0:20
	v_mov_b32_e32 v235, 0
	.loc	1 92 51                         ; int8_utils_aot.py:92:51
	s_cmp_ge_u32 s75, s15
	.loc	1 92 20                         ; int8_utils_aot.py:92:20
	s_cbranch_scc0 .LBB0_436
.LBB0_372:
	.loc	1 0 20                          ; int8_utils_aot.py:0:20
	v_mov_b32_e32 v236, 0
	.loc	1 92 51                         ; int8_utils_aot.py:92:51
	s_cmp_ge_u32 s77, s15
	.loc	1 92 20                         ; int8_utils_aot.py:92:20
	s_cbranch_scc0 .LBB0_437
.LBB0_373:
	.loc	1 0 20                          ; int8_utils_aot.py:0:20
	v_mov_b32_e32 v237, 0
	.loc	1 92 51                         ; int8_utils_aot.py:92:51
	s_cmp_ge_u32 s79, s15
	.loc	1 92 20                         ; int8_utils_aot.py:92:20
	s_cbranch_scc0 .LBB0_438
.LBB0_374:
	.loc	1 0 20                          ; int8_utils_aot.py:0:20
	v_mov_b32_e32 v238, 0
	.loc	1 92 51                         ; int8_utils_aot.py:92:51
	s_cmp_ge_u32 s80, s15
	.loc	1 92 20                         ; int8_utils_aot.py:92:20
	s_cbranch_scc0 .LBB0_439
.LBB0_375:
	.loc	1 0 20                          ; int8_utils_aot.py:0:20
	v_mov_b32_e32 v239, 0
	.loc	1 92 51                         ; int8_utils_aot.py:92:51
	s_cmp_ge_u32 s82, s15
	.loc	1 92 20                         ; int8_utils_aot.py:92:20
	s_cbranch_scc0 .LBB0_440
.LBB0_376:
	.loc	1 0 20                          ; int8_utils_aot.py:0:20
	v_mov_b32_e32 v240, 0
	.loc	1 92 51                         ; int8_utils_aot.py:92:51
	s_cmp_ge_u32 s83, s15
	.loc	1 92 20                         ; int8_utils_aot.py:92:20
	s_cbranch_scc0 .LBB0_441
.LBB0_377:
	.loc	1 0 20                          ; int8_utils_aot.py:0:20
	v_mov_b32_e32 v241, 0
	.loc	1 92 51                         ; int8_utils_aot.py:92:51
	s_cmp_ge_u32 s85, s15
	.loc	1 92 20                         ; int8_utils_aot.py:92:20
	s_cbranch_scc0 .LBB0_442
.LBB0_378:
	.loc	1 0 20                          ; int8_utils_aot.py:0:20
	v_mov_b32_e32 v242, 0
	.loc	1 92 51                         ; int8_utils_aot.py:92:51
	s_cmp_ge_u32 s87, s15
	.loc	1 92 20                         ; int8_utils_aot.py:92:20
	s_cbranch_scc0 .LBB0_443
.LBB0_379:
	.loc	1 0 20                          ; int8_utils_aot.py:0:20
	v_mov_b32_e32 v243, 0
	.loc	1 92 51                         ; int8_utils_aot.py:92:51
	s_cmp_ge_u32 s88, s15
	.loc	1 92 20                         ; int8_utils_aot.py:92:20
	s_cbranch_scc0 .LBB0_444
.LBB0_380:
	.loc	1 0 20                          ; int8_utils_aot.py:0:20
	v_mov_b32_e32 v244, 0
	.loc	1 92 51                         ; int8_utils_aot.py:92:51
	s_cmp_ge_u32 s90, s15
	.loc	1 92 20                         ; int8_utils_aot.py:92:20
	s_cbranch_scc0 .LBB0_445
.LBB0_381:
	.loc	1 0 20                          ; int8_utils_aot.py:0:20
	v_mov_b32_e32 v245, 0
	.loc	1 92 51                         ; int8_utils_aot.py:92:51
	s_cmp_ge_u32 s92, s15
	.loc	1 92 20                         ; int8_utils_aot.py:92:20
	s_cbranch_scc0 .LBB0_446
.LBB0_382:
	.loc	1 0 20                          ; int8_utils_aot.py:0:20
	v_mov_b32_e32 v246, 0
	.loc	1 92 51                         ; int8_utils_aot.py:92:51
	s_cmp_ge_u32 s93, s15
	.loc	1 92 20                         ; int8_utils_aot.py:92:20
	s_cbranch_scc0 .LBB0_447
.LBB0_383:
	.loc	1 0 20                          ; int8_utils_aot.py:0:20
	v_mov_b32_e32 v247, 0
	.loc	1 92 51                         ; int8_utils_aot.py:92:51
	s_cmp_ge_u32 s95, s15
	.loc	1 92 20                         ; int8_utils_aot.py:92:20
	s_cbranch_scc0 .LBB0_448
.LBB0_384:
	.loc	1 0 20                          ; int8_utils_aot.py:0:20
	v_mov_b32_e32 v248, 0
	.loc	1 92 51                         ; int8_utils_aot.py:92:51
	s_cmp_ge_u32 s97, s15
	.loc	1 92 20                         ; int8_utils_aot.py:92:20
	s_cbranch_scc0 .LBB0_449
.LBB0_385:
	.loc	1 0 20                          ; int8_utils_aot.py:0:20
	v_mov_b32_e32 v249, 0
	.loc	1 92 51                         ; int8_utils_aot.py:92:51
	s_cmp_ge_u32 s72, s15
	.loc	1 92 20                         ; int8_utils_aot.py:92:20
	s_cbranch_scc0 .LBB0_450
.LBB0_386:
	.loc	1 0 20                          ; int8_utils_aot.py:0:20
	v_mov_b32_e32 v250, 0
	.loc	1 92 51                         ; int8_utils_aot.py:92:51
	s_cmp_ge_u32 s7, s15
	.loc	1 92 20                         ; int8_utils_aot.py:92:20
	s_cbranch_scc0 .LBB0_451
.LBB0_387:
	.loc	1 0 20                          ; int8_utils_aot.py:0:20
	v_mov_b32_e32 v251, 0
	.loc	1 92 51                         ; int8_utils_aot.py:92:51
	s_cmp_ge_u32 s76, s15
	.loc	1 92 20                         ; int8_utils_aot.py:92:20
	s_cbranch_scc0 .LBB0_452
.LBB0_388:
	.loc	1 0 20                          ; int8_utils_aot.py:0:20
	v_mov_b32_e32 v252, 0
	.loc	1 92 20                         ; int8_utils_aot.py:92:20
	s_branch .LBB0_453
.LBB0_389:
	.loc	1 0 20                          ; int8_utils_aot.py:0:20
	v_mov_b32_e32 v73, 0
	.loc	1 92 51                         ; int8_utils_aot.py:92:51
	s_cmp_ge_u32 s27, s15
	.loc	1 92 20                         ; int8_utils_aot.py:92:20
	s_cbranch_scc1 .LBB0_326
.LBB0_390:
	.loc	1 0 20                          ; int8_utils_aot.py:0:20
	v_accvgpr_read_b32 v32, a74
	v_accvgpr_read_b32 v33, a75
	.loc	1 101 18 is_stmt 1              ; int8_utils_aot.py:101:18
	v_lshl_add_u64 v[32:33], v[32:33], 0, s[20:21]
	.loc	1 92 20                         ; int8_utils_aot.py:92:20
	global_load_ubyte v74, v[32:33], off
	.loc	1 92 51 is_stmt 0               ; int8_utils_aot.py:92:51
	s_cmp_ge_u32 s28, s15
	.loc	1 92 20                         ; int8_utils_aot.py:92:20
	s_cbranch_scc1 .LBB0_327
.LBB0_391:
	.loc	1 0 20                          ; int8_utils_aot.py:0:20
	v_accvgpr_read_b32 v32, a76
	v_accvgpr_read_b32 v33, a77
	.loc	1 101 18 is_stmt 1              ; int8_utils_aot.py:101:18
	v_lshl_add_u64 v[32:33], v[32:33], 0, s[20:21]
	.loc	1 92 20                         ; int8_utils_aot.py:92:20
	global_load_ubyte a30, v[32:33], off
	.loc	1 92 51 is_stmt 0               ; int8_utils_aot.py:92:51
	s_cmp_ge_u32 s29, s15
	.loc	1 92 20                         ; int8_utils_aot.py:92:20
	s_cbranch_scc1 .LBB0_328
.LBB0_392:
	.loc	1 0 20                          ; int8_utils_aot.py:0:20
	v_accvgpr_read_b32 v32, a78
	v_accvgpr_read_b32 v33, a79
	.loc	1 101 18 is_stmt 1              ; int8_utils_aot.py:101:18
	v_lshl_add_u64 v[32:33], v[32:33], 0, s[20:21]
	.loc	1 92 20                         ; int8_utils_aot.py:92:20
	global_load_ubyte a31, v[32:33], off
	.loc	1 92 51 is_stmt 0               ; int8_utils_aot.py:92:51
	s_cmp_ge_u32 s30, s15
	.loc	1 92 20                         ; int8_utils_aot.py:92:20
	s_cbranch_scc1 .LBB0_329
.LBB0_393:
	.loc	1 0 20                          ; int8_utils_aot.py:0:20
	v_accvgpr_read_b32 v32, a80
	v_accvgpr_read_b32 v33, a81
	.loc	1 101 18 is_stmt 1              ; int8_utils_aot.py:101:18
	v_lshl_add_u64 v[32:33], v[32:33], 0, s[20:21]
	.loc	1 92 20                         ; int8_utils_aot.py:92:20
	global_load_ubyte a32, v[32:33], off
	.loc	1 92 51 is_stmt 0               ; int8_utils_aot.py:92:51
	s_cmp_ge_u32 s31, s15
	.loc	1 92 20                         ; int8_utils_aot.py:92:20
	s_cbranch_scc1 .LBB0_330
.LBB0_394:
	.loc	1 0 20                          ; int8_utils_aot.py:0:20
	v_accvgpr_read_b32 v32, a82
	v_accvgpr_read_b32 v33, a83
	.loc	1 101 18 is_stmt 1              ; int8_utils_aot.py:101:18
	v_lshl_add_u64 v[32:33], v[32:33], 0, s[20:21]
	.loc	1 92 20                         ; int8_utils_aot.py:92:20
	global_load_ubyte a33, v[32:33], off
	.loc	1 92 51 is_stmt 0               ; int8_utils_aot.py:92:51
	s_cmp_ge_u32 s34, s15
	.loc	1 92 20                         ; int8_utils_aot.py:92:20
	s_cbranch_scc1 .LBB0_331
.LBB0_395:
	.loc	1 0 20                          ; int8_utils_aot.py:0:20
	v_accvgpr_read_b32 v32, a84
	v_accvgpr_read_b32 v33, a85
	.loc	1 101 18 is_stmt 1              ; int8_utils_aot.py:101:18
	v_lshl_add_u64 v[32:33], v[32:33], 0, s[20:21]
	.loc	1 92 20                         ; int8_utils_aot.py:92:20
	global_load_ubyte a34, v[32:33], off
	.loc	1 92 51 is_stmt 0               ; int8_utils_aot.py:92:51
	s_cmp_ge_u32 s35, s15
	.loc	1 92 20                         ; int8_utils_aot.py:92:20
	s_cbranch_scc1 .LBB0_332
.LBB0_396:
	.loc	1 0 20                          ; int8_utils_aot.py:0:20
	v_accvgpr_read_b32 v32, a86
	v_accvgpr_read_b32 v33, a87
	.loc	1 101 18 is_stmt 1              ; int8_utils_aot.py:101:18
	v_lshl_add_u64 v[32:33], v[32:33], 0, s[20:21]
	.loc	1 92 20                         ; int8_utils_aot.py:92:20
	global_load_ubyte a35, v[32:33], off
	.loc	1 92 51 is_stmt 0               ; int8_utils_aot.py:92:51
	s_cmp_ge_u32 s36, s15
	.loc	1 92 20                         ; int8_utils_aot.py:92:20
	s_cbranch_scc1 .LBB0_333
.LBB0_397:
	.loc	1 0 20                          ; int8_utils_aot.py:0:20
	v_accvgpr_read_b32 v32, a88
	v_accvgpr_read_b32 v33, a89
	.loc	1 101 18 is_stmt 1              ; int8_utils_aot.py:101:18
	v_lshl_add_u64 v[32:33], v[32:33], 0, s[20:21]
	.loc	1 92 20                         ; int8_utils_aot.py:92:20
	global_load_ubyte a36, v[32:33], off
	.loc	1 92 51 is_stmt 0               ; int8_utils_aot.py:92:51
	s_cmp_ge_u32 s37, s15
	.loc	1 92 20                         ; int8_utils_aot.py:92:20
	s_cbranch_scc1 .LBB0_334
.LBB0_398:
	.loc	1 0 20                          ; int8_utils_aot.py:0:20
	v_accvgpr_read_b32 v32, a90
	v_accvgpr_read_b32 v33, a91
	.loc	1 101 18 is_stmt 1              ; int8_utils_aot.py:101:18
	v_lshl_add_u64 v[32:33], v[32:33], 0, s[20:21]
	.loc	1 92 20                         ; int8_utils_aot.py:92:20
	global_load_ubyte a37, v[32:33], off
	.loc	1 92 51 is_stmt 0               ; int8_utils_aot.py:92:51
	s_cmp_ge_u32 s38, s15
	.loc	1 92 20                         ; int8_utils_aot.py:92:20
	s_cbranch_scc1 .LBB0_335
.LBB0_399:
	.loc	1 0 20                          ; int8_utils_aot.py:0:20
	v_accvgpr_read_b32 v32, a92
	v_accvgpr_read_b32 v33, a93
	.loc	1 101 18 is_stmt 1              ; int8_utils_aot.py:101:18
	v_lshl_add_u64 v[32:33], v[32:33], 0, s[20:21]
	.loc	1 92 20                         ; int8_utils_aot.py:92:20
	global_load_ubyte a38, v[32:33], off
	.loc	1 92 51 is_stmt 0               ; int8_utils_aot.py:92:51
	s_cmp_ge_u32 s39, s15
	.loc	1 92 20                         ; int8_utils_aot.py:92:20
	s_cbranch_scc1 .LBB0_336
.LBB0_400:
	.loc	1 0 20                          ; int8_utils_aot.py:0:20
	v_accvgpr_read_b32 v32, a94
	v_accvgpr_read_b32 v33, a95
	.loc	1 101 18 is_stmt 1              ; int8_utils_aot.py:101:18
	v_lshl_add_u64 v[32:33], v[32:33], 0, s[20:21]
	.loc	1 92 20                         ; int8_utils_aot.py:92:20
	global_load_ubyte a39, v[32:33], off
	.loc	1 92 51 is_stmt 0               ; int8_utils_aot.py:92:51
	s_cmp_ge_u32 s40, s15
	.loc	1 92 20                         ; int8_utils_aot.py:92:20
	s_cbranch_scc1 .LBB0_337
.LBB0_401:
	.loc	1 0 20                          ; int8_utils_aot.py:0:20
	v_accvgpr_read_b32 v32, a96
	v_accvgpr_read_b32 v33, a97
	.loc	1 101 18 is_stmt 1              ; int8_utils_aot.py:101:18
	v_lshl_add_u64 v[32:33], v[32:33], 0, s[20:21]
	.loc	1 92 20                         ; int8_utils_aot.py:92:20
	global_load_ubyte a40, v[32:33], off
	.loc	1 92 51 is_stmt 0               ; int8_utils_aot.py:92:51
	s_cmp_ge_u32 s41, s15
	.loc	1 92 20                         ; int8_utils_aot.py:92:20
	s_cbranch_scc1 .LBB0_338
.LBB0_402:
	.loc	1 0 20                          ; int8_utils_aot.py:0:20
	v_accvgpr_read_b32 v32, a98
	v_accvgpr_read_b32 v33, a99
	.loc	1 101 18 is_stmt 1              ; int8_utils_aot.py:101:18
	v_lshl_add_u64 v[32:33], v[32:33], 0, s[20:21]
	.loc	1 92 20                         ; int8_utils_aot.py:92:20
	global_load_ubyte a41, v[32:33], off
	.loc	1 92 51 is_stmt 0               ; int8_utils_aot.py:92:51
	s_cmp_ge_u32 s42, s15
	.loc	1 92 20                         ; int8_utils_aot.py:92:20
	s_cbranch_scc1 .LBB0_339
.LBB0_403:
	.loc	1 0 20                          ; int8_utils_aot.py:0:20
	v_accvgpr_read_b32 v32, a100
	v_accvgpr_read_b32 v33, a101
	.loc	1 101 18 is_stmt 1              ; int8_utils_aot.py:101:18
	v_lshl_add_u64 v[32:33], v[32:33], 0, s[20:21]
	.loc	1 92 20                         ; int8_utils_aot.py:92:20
	global_load_ubyte a42, v[32:33], off
	.loc	1 92 51 is_stmt 0               ; int8_utils_aot.py:92:51
	s_cmp_ge_u32 s43, s15
	.loc	1 92 20                         ; int8_utils_aot.py:92:20
	s_cbranch_scc1 .LBB0_340
.LBB0_404:
	.loc	1 0 20                          ; int8_utils_aot.py:0:20
	v_accvgpr_read_b32 v32, a102
	v_accvgpr_read_b32 v33, a103
	.loc	1 101 18 is_stmt 1              ; int8_utils_aot.py:101:18
	v_lshl_add_u64 v[32:33], v[32:33], 0, s[20:21]
	.loc	1 92 20                         ; int8_utils_aot.py:92:20
	global_load_ubyte a43, v[32:33], off
	.loc	1 92 51 is_stmt 0               ; int8_utils_aot.py:92:51
	s_cmp_ge_u32 s44, s15
	.loc	1 92 20                         ; int8_utils_aot.py:92:20
	s_cbranch_scc1 .LBB0_341
.LBB0_405:
	.loc	1 0 20                          ; int8_utils_aot.py:0:20
	v_accvgpr_read_b32 v32, a104
	v_accvgpr_read_b32 v33, a105
	.loc	1 101 18 is_stmt 1              ; int8_utils_aot.py:101:18
	v_lshl_add_u64 v[32:33], v[32:33], 0, s[20:21]
	.loc	1 92 20                         ; int8_utils_aot.py:92:20
	global_load_ubyte a44, v[32:33], off
	.loc	1 92 51 is_stmt 0               ; int8_utils_aot.py:92:51
	s_cmp_ge_u32 s45, s15
	.loc	1 92 20                         ; int8_utils_aot.py:92:20
	s_cbranch_scc1 .LBB0_342
.LBB0_406:
	.loc	1 0 20                          ; int8_utils_aot.py:0:20
	v_accvgpr_read_b32 v32, a106
	v_accvgpr_read_b32 v33, a107
	.loc	1 101 18 is_stmt 1              ; int8_utils_aot.py:101:18
	v_lshl_add_u64 v[32:33], v[32:33], 0, s[20:21]
	.loc	1 92 20                         ; int8_utils_aot.py:92:20
	global_load_ubyte a45, v[32:33], off
	.loc	1 92 51 is_stmt 0               ; int8_utils_aot.py:92:51
	s_cmp_ge_u32 s46, s15
	.loc	1 92 20                         ; int8_utils_aot.py:92:20
	s_cbranch_scc1 .LBB0_343
.LBB0_407:
	.loc	1 0 20                          ; int8_utils_aot.py:0:20
	v_accvgpr_read_b32 v32, a108
	v_accvgpr_read_b32 v33, a109
	.loc	1 101 18 is_stmt 1              ; int8_utils_aot.py:101:18
	v_lshl_add_u64 v[32:33], v[32:33], 0, s[20:21]
	.loc	1 92 20                         ; int8_utils_aot.py:92:20
	global_load_ubyte a46, v[32:33], off
	.loc	1 92 51 is_stmt 0               ; int8_utils_aot.py:92:51
	s_cmp_ge_u32 s47, s15
	.loc	1 92 20                         ; int8_utils_aot.py:92:20
	s_cbranch_scc1 .LBB0_344
.LBB0_408:
	.loc	1 0 20                          ; int8_utils_aot.py:0:20
	v_accvgpr_read_b32 v32, a110
	v_accvgpr_read_b32 v33, a111
	.loc	1 101 18 is_stmt 1              ; int8_utils_aot.py:101:18
	v_lshl_add_u64 v[32:33], v[32:33], 0, s[20:21]
	.loc	1 92 20                         ; int8_utils_aot.py:92:20
	global_load_ubyte a47, v[32:33], off
	.loc	1 92 51 is_stmt 0               ; int8_utils_aot.py:92:51
	s_cmp_ge_u32 s48, s15
	.loc	1 92 20                         ; int8_utils_aot.py:92:20
	s_cbranch_scc1 .LBB0_345
.LBB0_409:
	.loc	1 0 20                          ; int8_utils_aot.py:0:20
	v_accvgpr_read_b32 v32, a112
	v_accvgpr_read_b32 v33, a113
	.loc	1 101 18 is_stmt 1              ; int8_utils_aot.py:101:18
	v_lshl_add_u64 v[32:33], v[32:33], 0, s[20:21]
	.loc	1 92 20                         ; int8_utils_aot.py:92:20
	global_load_ubyte a48, v[32:33], off
	.loc	1 92 51 is_stmt 0               ; int8_utils_aot.py:92:51
	s_cmp_ge_u32 s49, s15
	.loc	1 92 20                         ; int8_utils_aot.py:92:20
	s_cbranch_scc1 .LBB0_346
.LBB0_410:
	.loc	1 0 20                          ; int8_utils_aot.py:0:20
	v_accvgpr_read_b32 v32, a114
	v_accvgpr_read_b32 v33, a115
	.loc	1 101 18 is_stmt 1              ; int8_utils_aot.py:101:18
	v_lshl_add_u64 v[32:33], v[32:33], 0, s[20:21]
	.loc	1 92 20                         ; int8_utils_aot.py:92:20
	global_load_ubyte a49, v[32:33], off
	.loc	1 92 51 is_stmt 0               ; int8_utils_aot.py:92:51
	s_cmp_ge_u32 s50, s15
	.loc	1 92 20                         ; int8_utils_aot.py:92:20
	s_cbranch_scc1 .LBB0_347
.LBB0_411:
	.loc	1 0 20                          ; int8_utils_aot.py:0:20
	v_accvgpr_read_b32 v32, a116
	v_accvgpr_read_b32 v33, a117
	.loc	1 101 18 is_stmt 1              ; int8_utils_aot.py:101:18
	v_lshl_add_u64 v[32:33], v[32:33], 0, s[20:21]
	.loc	1 92 20                         ; int8_utils_aot.py:92:20
	global_load_ubyte a50, v[32:33], off
	.loc	1 92 51 is_stmt 0               ; int8_utils_aot.py:92:51
	s_cmp_ge_u32 s51, s15
	.loc	1 92 20                         ; int8_utils_aot.py:92:20
	s_cbranch_scc1 .LBB0_348
.LBB0_412:
	.loc	1 0 20                          ; int8_utils_aot.py:0:20
	v_accvgpr_read_b32 v32, a118
	v_accvgpr_read_b32 v33, a119
	.loc	1 101 18 is_stmt 1              ; int8_utils_aot.py:101:18
	v_lshl_add_u64 v[32:33], v[32:33], 0, s[20:21]
	.loc	1 92 20                         ; int8_utils_aot.py:92:20
	global_load_ubyte a51, v[32:33], off
	.loc	1 92 51 is_stmt 0               ; int8_utils_aot.py:92:51
	s_cmp_ge_u32 s52, s15
	.loc	1 92 20                         ; int8_utils_aot.py:92:20
	s_cbranch_scc1 .LBB0_349
.LBB0_413:
	.loc	1 0 20                          ; int8_utils_aot.py:0:20
	v_accvgpr_read_b32 v32, a120
	v_accvgpr_read_b32 v33, a121
	.loc	1 101 18 is_stmt 1              ; int8_utils_aot.py:101:18
	v_lshl_add_u64 v[32:33], v[32:33], 0, s[20:21]
	.loc	1 92 20                         ; int8_utils_aot.py:92:20
	global_load_ubyte a52, v[32:33], off
	.loc	1 92 51 is_stmt 0               ; int8_utils_aot.py:92:51
	s_cmp_ge_u32 s53, s15
	.loc	1 92 20                         ; int8_utils_aot.py:92:20
	s_cbranch_scc1 .LBB0_350
.LBB0_414:
	.loc	1 0 20                          ; int8_utils_aot.py:0:20
	v_accvgpr_read_b32 v32, a122
	v_accvgpr_read_b32 v33, a123
	.loc	1 101 18 is_stmt 1              ; int8_utils_aot.py:101:18
	v_lshl_add_u64 v[32:33], v[32:33], 0, s[20:21]
	.loc	1 92 20                         ; int8_utils_aot.py:92:20
	global_load_ubyte a53, v[32:33], off
	.loc	1 92 51 is_stmt 0               ; int8_utils_aot.py:92:51
	s_cmp_ge_u32 s54, s15
	.loc	1 92 20                         ; int8_utils_aot.py:92:20
	s_cbranch_scc1 .LBB0_351
.LBB0_415:
	.loc	1 0 20                          ; int8_utils_aot.py:0:20
	v_accvgpr_read_b32 v32, a124
	v_accvgpr_read_b32 v33, a125
	.loc	1 101 18 is_stmt 1              ; int8_utils_aot.py:101:18
	v_lshl_add_u64 v[32:33], v[32:33], 0, s[20:21]
	.loc	1 92 20                         ; int8_utils_aot.py:92:20
	global_load_ubyte a54, v[32:33], off
	.loc	1 92 51 is_stmt 0               ; int8_utils_aot.py:92:51
	s_cmp_ge_u32 s55, s15
	.loc	1 92 20                         ; int8_utils_aot.py:92:20
	s_cbranch_scc1 .LBB0_352
.LBB0_416:
	.loc	1 0 20                          ; int8_utils_aot.py:0:20
	v_accvgpr_read_b32 v32, a126
	v_accvgpr_read_b32 v33, a127
	.loc	1 101 18 is_stmt 1              ; int8_utils_aot.py:101:18
	v_lshl_add_u64 v[32:33], v[32:33], 0, s[20:21]
	.loc	1 92 20                         ; int8_utils_aot.py:92:20
	global_load_ubyte a55, v[32:33], off
	.loc	1 92 51 is_stmt 0               ; int8_utils_aot.py:92:51
	s_cmp_ge_u32 s56, s15
	.loc	1 92 20                         ; int8_utils_aot.py:92:20
	s_cbranch_scc1 .LBB0_353
.LBB0_417:
	.loc	1 0 20                          ; int8_utils_aot.py:0:20
	v_accvgpr_read_b32 v32, a214
	v_accvgpr_read_b32 v33, a215
	.loc	1 101 18 is_stmt 1              ; int8_utils_aot.py:101:18
	v_lshl_add_u64 v[32:33], v[32:33], 0, s[20:21]
	.loc	1 92 20                         ; int8_utils_aot.py:92:20
	global_load_ubyte a56, v[32:33], off
	.loc	1 92 51 is_stmt 0               ; int8_utils_aot.py:92:51
	s_cmp_ge_u32 s57, s15
	.loc	1 92 20                         ; int8_utils_aot.py:92:20
	s_cbranch_scc1 .LBB0_354
.LBB0_418:
	.loc	1 0 20                          ; int8_utils_aot.py:0:20
	v_accvgpr_read_b32 v32, a216
	v_accvgpr_read_b32 v33, a217
	.loc	1 101 18 is_stmt 1              ; int8_utils_aot.py:101:18
	v_lshl_add_u64 v[32:33], v[32:33], 0, s[20:21]
	.loc	1 92 20                         ; int8_utils_aot.py:92:20
	global_load_ubyte a57, v[32:33], off
	.loc	1 92 51 is_stmt 0               ; int8_utils_aot.py:92:51
	s_cmp_ge_u32 s58, s15
	.loc	1 92 20                         ; int8_utils_aot.py:92:20
	s_cbranch_scc1 .LBB0_355
.LBB0_419:
	.loc	1 0 20                          ; int8_utils_aot.py:0:20
	v_accvgpr_read_b32 v32, a218
	v_accvgpr_read_b32 v33, a219
	.loc	1 101 18 is_stmt 1              ; int8_utils_aot.py:101:18
	v_lshl_add_u64 v[32:33], v[32:33], 0, s[20:21]
	.loc	1 92 20                         ; int8_utils_aot.py:92:20
	global_load_ubyte a58, v[32:33], off
	.loc	1 92 51 is_stmt 0               ; int8_utils_aot.py:92:51
	s_cmp_ge_u32 s59, s15
	.loc	1 92 20                         ; int8_utils_aot.py:92:20
	s_cbranch_scc1 .LBB0_356
.LBB0_420:
	.loc	1 0 20                          ; int8_utils_aot.py:0:20
	v_accvgpr_read_b32 v32, a220
	v_accvgpr_read_b32 v33, a221
	.loc	1 101 18 is_stmt 1              ; int8_utils_aot.py:101:18
	v_lshl_add_u64 v[32:33], v[32:33], 0, s[20:21]
	.loc	1 92 20                         ; int8_utils_aot.py:92:20
	global_load_ubyte a59, v[32:33], off
	.loc	1 92 51 is_stmt 0               ; int8_utils_aot.py:92:51
	s_cmp_ge_u32 s24, s15
	.loc	1 92 20                         ; int8_utils_aot.py:92:20
	s_cbranch_scc1 .LBB0_357
.LBB0_421:
	.loc	1 0 20                          ; int8_utils_aot.py:0:20
	v_accvgpr_read_b32 v32, a222
	v_accvgpr_read_b32 v33, a223
	.loc	1 101 18 is_stmt 1              ; int8_utils_aot.py:101:18
	v_lshl_add_u64 v[32:33], v[32:33], 0, s[20:21]
	.loc	1 92 20                         ; int8_utils_aot.py:92:20
	global_load_ubyte a60, v[32:33], off
	.loc	1 92 51 is_stmt 0               ; int8_utils_aot.py:92:51
	s_cmp_ge_u32 s25, s15
	.loc	1 92 20                         ; int8_utils_aot.py:92:20
	s_cbranch_scc1 .LBB0_358
.LBB0_422:
	.loc	1 0 20                          ; int8_utils_aot.py:0:20
	v_accvgpr_read_b32 v32, a224
	v_accvgpr_read_b32 v33, a225
	.loc	1 101 18 is_stmt 1              ; int8_utils_aot.py:101:18
	v_lshl_add_u64 v[32:33], v[32:33], 0, s[20:21]
	.loc	1 92 20                         ; int8_utils_aot.py:92:20
	global_load_ubyte a61, v[32:33], off
	.loc	1 92 51 is_stmt 0               ; int8_utils_aot.py:92:51
	s_cmp_ge_u32 s60, s15
	.loc	1 92 20                         ; int8_utils_aot.py:92:20
	s_cbranch_scc1 .LBB0_359
.LBB0_423:
	.loc	1 0 20                          ; int8_utils_aot.py:0:20
	v_accvgpr_read_b32 v32, a226
	v_accvgpr_read_b32 v33, a227
	.loc	1 101 18 is_stmt 1              ; int8_utils_aot.py:101:18
	v_lshl_add_u64 v[32:33], v[32:33], 0, s[20:21]
	.loc	1 92 20                         ; int8_utils_aot.py:92:20
	global_load_ubyte a62, v[32:33], off
	.loc	1 92 51 is_stmt 0               ; int8_utils_aot.py:92:51
	s_cmp_ge_u32 s61, s15
	.loc	1 92 20                         ; int8_utils_aot.py:92:20
	s_cbranch_scc1 .LBB0_360
.LBB0_424:
	.loc	1 0 20                          ; int8_utils_aot.py:0:20
	v_accvgpr_read_b32 v32, a228
	v_accvgpr_read_b32 v33, a229
	.loc	1 101 18 is_stmt 1              ; int8_utils_aot.py:101:18
	v_lshl_add_u64 v[32:33], v[32:33], 0, s[20:21]
	.loc	1 92 20                         ; int8_utils_aot.py:92:20
	global_load_ubyte a63, v[32:33], off
	.loc	1 92 51 is_stmt 0               ; int8_utils_aot.py:92:51
	s_cmp_ge_u32 s62, s15
	.loc	1 92 20                         ; int8_utils_aot.py:92:20
	s_cbranch_scc1 .LBB0_361
.LBB0_425:
	.loc	1 101 18 is_stmt 1              ; int8_utils_aot.py:101:18
	v_lshl_add_u64 v[26:27], v[26:27], 0, s[20:21]
	.loc	1 92 20                         ; int8_utils_aot.py:92:20
	global_load_ubyte a64, v[26:27], off
	.loc	1 92 51 is_stmt 0               ; int8_utils_aot.py:92:51
	s_cmp_ge_u32 s63, s15
	.loc	1 92 20                         ; int8_utils_aot.py:92:20
	s_cbranch_scc1 .LBB0_362
.LBB0_426:
	.loc	1 101 18 is_stmt 1              ; int8_utils_aot.py:101:18
	v_lshl_add_u64 v[26:27], v[28:29], 0, s[20:21]
	.loc	1 92 20                         ; int8_utils_aot.py:92:20
	global_load_ubyte a65, v[26:27], off
	.loc	1 92 51 is_stmt 0               ; int8_utils_aot.py:92:51
	s_cmp_ge_u32 s64, s15
	.loc	1 92 20                         ; int8_utils_aot.py:92:20
	s_cbranch_scc1 .LBB0_363
.LBB0_427:
	.loc	1 101 18 is_stmt 1              ; int8_utils_aot.py:101:18
	v_lshl_add_u64 v[26:27], v[30:31], 0, s[20:21]
	.loc	1 92 20                         ; int8_utils_aot.py:92:20
	global_load_ubyte a66, v[26:27], off
	.loc	1 92 51 is_stmt 0               ; int8_utils_aot.py:92:51
	s_cmp_ge_u32 s65, s15
	.loc	1 92 20                         ; int8_utils_aot.py:92:20
	s_cbranch_scc1 .LBB0_364
.LBB0_428:
	.loc	1 101 18 is_stmt 1              ; int8_utils_aot.py:101:18
	v_lshl_add_u64 v[26:27], v[228:229], 0, s[20:21]
	.loc	1 92 20                         ; int8_utils_aot.py:92:20
	global_load_ubyte v228, v[26:27], off
	.loc	1 92 51 is_stmt 0               ; int8_utils_aot.py:92:51
	s_cmp_ge_u32 s66, s15
	.loc	1 92 20                         ; int8_utils_aot.py:92:20
	s_cbranch_scc1 .LBB0_365
.LBB0_429:
	.loc	1 101 18 is_stmt 1              ; int8_utils_aot.py:101:18
	v_lshl_add_u64 v[26:27], v[230:231], 0, s[20:21]
	.loc	1 92 20                         ; int8_utils_aot.py:92:20
	global_load_ubyte v229, v[26:27], off
	.loc	1 92 51 is_stmt 0               ; int8_utils_aot.py:92:51
	s_cmp_ge_u32 s67, s15
	.loc	1 92 20                         ; int8_utils_aot.py:92:20
	s_cbranch_scc1 .LBB0_366
.LBB0_430:
	.loc	1 101 18 is_stmt 1              ; int8_utils_aot.py:101:18
	v_lshl_add_u64 v[26:27], v[232:233], 0, s[20:21]
	.loc	1 92 20                         ; int8_utils_aot.py:92:20
	global_load_ubyte v230, v[26:27], off
	.loc	1 92 51 is_stmt 0               ; int8_utils_aot.py:92:51
	s_cmp_ge_u32 s68, s15
	.loc	1 92 20                         ; int8_utils_aot.py:92:20
	s_cbranch_scc1 .LBB0_367
.LBB0_431:
	.loc	1 101 18 is_stmt 1              ; int8_utils_aot.py:101:18
	v_lshl_add_u64 v[26:27], v[234:235], 0, s[20:21]
	.loc	1 92 20                         ; int8_utils_aot.py:92:20
	global_load_ubyte v231, v[26:27], off
	.loc	1 92 51 is_stmt 0               ; int8_utils_aot.py:92:51
	s_cmp_ge_u32 s69, s15
	.loc	1 92 20                         ; int8_utils_aot.py:92:20
	s_cbranch_scc1 .LBB0_368
.LBB0_432:
	.loc	1 101 18 is_stmt 1              ; int8_utils_aot.py:101:18
	v_lshl_add_u64 v[26:27], v[236:237], 0, s[20:21]
	.loc	1 92 20                         ; int8_utils_aot.py:92:20
	global_load_ubyte v232, v[26:27], off
	.loc	1 92 51 is_stmt 0               ; int8_utils_aot.py:92:51
	s_cmp_ge_u32 s70, s15
	.loc	1 92 20                         ; int8_utils_aot.py:92:20
	s_cbranch_scc1 .LBB0_369
.LBB0_433:
	.loc	1 101 18 is_stmt 1              ; int8_utils_aot.py:101:18
	v_lshl_add_u64 v[26:27], v[238:239], 0, s[20:21]
	.loc	1 92 20                         ; int8_utils_aot.py:92:20
	global_load_ubyte v233, v[26:27], off
	.loc	1 92 51 is_stmt 0               ; int8_utils_aot.py:92:51
	s_cmp_ge_u32 s71, s15
	.loc	1 92 20                         ; int8_utils_aot.py:92:20
	s_cbranch_scc1 .LBB0_370
.LBB0_434:
	.loc	1 101 18 is_stmt 1              ; int8_utils_aot.py:101:18
	v_lshl_add_u64 v[26:27], v[240:241], 0, s[20:21]
	.loc	1 92 20                         ; int8_utils_aot.py:92:20
	global_load_ubyte v234, v[26:27], off
	.loc	1 92 51 is_stmt 0               ; int8_utils_aot.py:92:51
	s_cmp_ge_u32 s73, s15
	.loc	1 92 20                         ; int8_utils_aot.py:92:20
	s_cbranch_scc1 .LBB0_371
.LBB0_435:
	.loc	1 101 18 is_stmt 1              ; int8_utils_aot.py:101:18
	v_lshl_add_u64 v[26:27], v[242:243], 0, s[20:21]
	.loc	1 92 20                         ; int8_utils_aot.py:92:20
	global_load_ubyte v235, v[26:27], off
	.loc	1 92 51 is_stmt 0               ; int8_utils_aot.py:92:51
	s_cmp_ge_u32 s75, s15
	.loc	1 92 20                         ; int8_utils_aot.py:92:20
	s_cbranch_scc1 .LBB0_372
.LBB0_436:
	.loc	1 101 18 is_stmt 1              ; int8_utils_aot.py:101:18
	v_lshl_add_u64 v[26:27], v[244:245], 0, s[20:21]
	.loc	1 92 20                         ; int8_utils_aot.py:92:20
	global_load_ubyte v236, v[26:27], off
	.loc	1 92 51 is_stmt 0               ; int8_utils_aot.py:92:51
	s_cmp_ge_u32 s77, s15
	.loc	1 92 20                         ; int8_utils_aot.py:92:20
	s_cbranch_scc1 .LBB0_373
.LBB0_437:
	.loc	1 101 18 is_stmt 1              ; int8_utils_aot.py:101:18
	v_lshl_add_u64 v[26:27], v[246:247], 0, s[20:21]
	.loc	1 92 20                         ; int8_utils_aot.py:92:20
	global_load_ubyte v237, v[26:27], off
	.loc	1 92 51 is_stmt 0               ; int8_utils_aot.py:92:51
	s_cmp_ge_u32 s79, s15
	.loc	1 92 20                         ; int8_utils_aot.py:92:20
	s_cbranch_scc1 .LBB0_374
.LBB0_438:
	.loc	1 101 18 is_stmt 1              ; int8_utils_aot.py:101:18
	v_lshl_add_u64 v[26:27], v[248:249], 0, s[20:21]
	.loc	1 92 20                         ; int8_utils_aot.py:92:20
	global_load_ubyte v238, v[26:27], off
	.loc	1 92 51 is_stmt 0               ; int8_utils_aot.py:92:51
	s_cmp_ge_u32 s80, s15
	.loc	1 92 20                         ; int8_utils_aot.py:92:20
	s_cbranch_scc1 .LBB0_375
.LBB0_439:
	.loc	1 101 18 is_stmt 1              ; int8_utils_aot.py:101:18
	v_lshl_add_u64 v[26:27], v[250:251], 0, s[20:21]
	.loc	1 92 20                         ; int8_utils_aot.py:92:20
	global_load_ubyte v239, v[26:27], off
	.loc	1 92 51 is_stmt 0               ; int8_utils_aot.py:92:51
	s_cmp_ge_u32 s82, s15
	.loc	1 92 20                         ; int8_utils_aot.py:92:20
	s_cbranch_scc1 .LBB0_376
.LBB0_440:
	.loc	1 101 18 is_stmt 1              ; int8_utils_aot.py:101:18
	v_lshl_add_u64 v[26:27], v[252:253], 0, s[20:21]
	.loc	1 92 20                         ; int8_utils_aot.py:92:20
	global_load_ubyte v240, v[26:27], off
	.loc	1 92 51 is_stmt 0               ; int8_utils_aot.py:92:51
	s_cmp_ge_u32 s83, s15
	.loc	1 92 20                         ; int8_utils_aot.py:92:20
	s_cbranch_scc1 .LBB0_377
.LBB0_441:
	.loc	1 101 18 is_stmt 1              ; int8_utils_aot.py:101:18
	v_lshl_add_u64 v[2:3], v[2:3], 0, s[20:21]
	.loc	1 92 20                         ; int8_utils_aot.py:92:20
	global_load_ubyte v241, v[2:3], off
	.loc	1 92 51 is_stmt 0               ; int8_utils_aot.py:92:51
	s_cmp_ge_u32 s85, s15
	.loc	1 92 20                         ; int8_utils_aot.py:92:20
	s_cbranch_scc1 .LBB0_378
.LBB0_442:
	.loc	1 101 18 is_stmt 1              ; int8_utils_aot.py:101:18
	v_lshl_add_u64 v[2:3], v[4:5], 0, s[20:21]
	.loc	1 92 20                         ; int8_utils_aot.py:92:20
	global_load_ubyte v242, v[2:3], off
	.loc	1 92 51 is_stmt 0               ; int8_utils_aot.py:92:51
	s_cmp_ge_u32 s87, s15
	.loc	1 92 20                         ; int8_utils_aot.py:92:20
	s_cbranch_scc1 .LBB0_379
.LBB0_443:
	.loc	1 101 18 is_stmt 1              ; int8_utils_aot.py:101:18
	v_lshl_add_u64 v[2:3], v[6:7], 0, s[20:21]
	.loc	1 92 20                         ; int8_utils_aot.py:92:20
	global_load_ubyte v243, v[2:3], off
	.loc	1 92 51 is_stmt 0               ; int8_utils_aot.py:92:51
	s_cmp_ge_u32 s88, s15
	.loc	1 92 20                         ; int8_utils_aot.py:92:20
	s_cbranch_scc1 .LBB0_380
.LBB0_444:
	.loc	1 101 18 is_stmt 1              ; int8_utils_aot.py:101:18
	v_lshl_add_u64 v[2:3], v[8:9], 0, s[20:21]
	.loc	1 92 20                         ; int8_utils_aot.py:92:20
	global_load_ubyte v244, v[2:3], off
	.loc	1 92 51 is_stmt 0               ; int8_utils_aot.py:92:51
	s_cmp_ge_u32 s90, s15
	.loc	1 92 20                         ; int8_utils_aot.py:92:20
	s_cbranch_scc1 .LBB0_381
.LBB0_445:
	.loc	1 101 18 is_stmt 1              ; int8_utils_aot.py:101:18
	v_lshl_add_u64 v[2:3], v[10:11], 0, s[20:21]
	.loc	1 92 20                         ; int8_utils_aot.py:92:20
	global_load_ubyte v245, v[2:3], off
	.loc	1 92 51 is_stmt 0               ; int8_utils_aot.py:92:51
	s_cmp_ge_u32 s92, s15
	.loc	1 92 20                         ; int8_utils_aot.py:92:20
	s_cbranch_scc1 .LBB0_382
.LBB0_446:
	.loc	1 101 18 is_stmt 1              ; int8_utils_aot.py:101:18
	v_lshl_add_u64 v[2:3], v[12:13], 0, s[20:21]
	.loc	1 92 20                         ; int8_utils_aot.py:92:20
	global_load_ubyte v246, v[2:3], off
	.loc	1 92 51 is_stmt 0               ; int8_utils_aot.py:92:51
	s_cmp_ge_u32 s93, s15
	.loc	1 92 20                         ; int8_utils_aot.py:92:20
	s_cbranch_scc1 .LBB0_383
.LBB0_447:
	.loc	1 101 18 is_stmt 1              ; int8_utils_aot.py:101:18
	v_lshl_add_u64 v[2:3], v[14:15], 0, s[20:21]
	.loc	1 92 20                         ; int8_utils_aot.py:92:20
	global_load_ubyte v247, v[2:3], off
	.loc	1 92 51 is_stmt 0               ; int8_utils_aot.py:92:51
	s_cmp_ge_u32 s95, s15
	.loc	1 92 20                         ; int8_utils_aot.py:92:20
	s_cbranch_scc1 .LBB0_384
.LBB0_448:
	.loc	1 101 18 is_stmt 1              ; int8_utils_aot.py:101:18
	v_lshl_add_u64 v[2:3], v[16:17], 0, s[20:21]
	.loc	1 92 20                         ; int8_utils_aot.py:92:20
	global_load_ubyte v248, v[2:3], off
	.loc	1 92 51 is_stmt 0               ; int8_utils_aot.py:92:51
	s_cmp_ge_u32 s97, s15
	.loc	1 92 20                         ; int8_utils_aot.py:92:20
	s_cbranch_scc1 .LBB0_385
.LBB0_449:
	.loc	1 101 18 is_stmt 1              ; int8_utils_aot.py:101:18
	v_lshl_add_u64 v[2:3], v[18:19], 0, s[20:21]
	.loc	1 92 20                         ; int8_utils_aot.py:92:20
	global_load_ubyte v249, v[2:3], off
	.loc	1 92 51 is_stmt 0               ; int8_utils_aot.py:92:51
	s_cmp_ge_u32 s72, s15
	.loc	1 92 20                         ; int8_utils_aot.py:92:20
	s_cbranch_scc1 .LBB0_386
.LBB0_450:
	.loc	1 101 18 is_stmt 1              ; int8_utils_aot.py:101:18
	v_lshl_add_u64 v[2:3], v[20:21], 0, s[20:21]
	.loc	1 92 20                         ; int8_utils_aot.py:92:20
	global_load_ubyte v250, v[2:3], off
	.loc	1 92 51 is_stmt 0               ; int8_utils_aot.py:92:51
	s_cmp_ge_u32 s7, s15
	.loc	1 92 20                         ; int8_utils_aot.py:92:20
	s_cbranch_scc1 .LBB0_387
.LBB0_451:
	.loc	1 101 18 is_stmt 1              ; int8_utils_aot.py:101:18
	v_lshl_add_u64 v[2:3], v[22:23], 0, s[20:21]
	.loc	1 92 20                         ; int8_utils_aot.py:92:20
	global_load_ubyte v251, v[2:3], off
	.loc	1 92 51 is_stmt 0               ; int8_utils_aot.py:92:51
	s_cmp_ge_u32 s76, s15
	.loc	1 92 20                         ; int8_utils_aot.py:92:20
	s_cbranch_scc1 .LBB0_388
.LBB0_452:
	.loc	1 101 18 is_stmt 1              ; int8_utils_aot.py:101:18
	v_lshl_add_u64 v[2:3], v[24:25], 0, s[20:21]
	.loc	1 92 20                         ; int8_utils_aot.py:92:20
	global_load_ubyte v252, v[2:3], off
.LBB0_453:
	.loc	1 0 20 is_stmt 0                ; int8_utils_aot.py:0:20
	v_and_b32_e32 v2, 48, v72
	s_movk_i32 s22, 0xb80
	v_and_or_b32 v2, v70, s22, v2
	.loc	1 96 22 is_stmt 1               ; int8_utils_aot.py:96:22
	global_load_dword v70, v[196:197], off
	global_load_dword v52, v[194:195], off
	.loc	1 97 22                         ; int8_utils_aot.py:97:22
	global_load_dword v36, v[192:193], off
	global_load_dword v37, v[190:191], off
	global_load_dword v38, v[188:189], off
	global_load_dword v39, v[186:187], off
	global_load_dword v40, v[184:185], off
	global_load_dword v41, v[182:183], off
	global_load_dword v42, v[180:181], off
	global_load_dword v43, v[178:179], off
	global_load_dword v44, v[176:177], off
	global_load_dword v45, v[174:175], off
	global_load_dword v46, v[172:173], off
	global_load_dword v47, v[170:171], off
	global_load_dword v48, v[168:169], off
	global_load_dword v49, v[166:167], off
	global_load_dword v50, v[164:165], off
	global_load_dword v51, v[162:163], off
	v_and_b32_e32 v1, 8, v1
	v_bitop3_b32 v2, s18, v2, v71 bitop3:0x36
	s_movk_i32 s22, 0x440
	v_or_b32_e32 v4, v2, v1
	v_bitop3_b32 v3, v2, s22, v1 bitop3:0x36
	v_bitop3_b32 v1, v2, 64, v1 bitop3:0x36
	.loc	1 92 20                         ; int8_utils_aot.py:92:20
	v_add_u32_e32 v104, 0, v4
	v_add_u32_e32 v105, 0, v1
	ds_read_b64_tr_b8 v[106:107], v104
	ds_read_b64_tr_b8 v[110:111], v104 offset:4096
	ds_read_b64_tr_b8 v[198:199], v104 offset:8192
	;; [unrolled: 1-line block ×7, first 2 shown]
	v_accvgpr_write_b32 a213, v3
	v_accvgpr_write_b32 a214, v4
	.loc	1 99 33                         ; int8_utils_aot.py:99:33
	s_waitcnt lgkmcnt(3)
	v_mfma_i32_32x32x32_i8 v[18:33], v[106:109], v[76:79], 0
.Ltmp12:
	.loc	2 43 30                         ; standard.py:43:30 @[ int8_utils_aot.py:90:33 ]
	s_ashr_i32 s15, s94, 31
	s_lshr_b32 s15, s15, 25
	s_add_i32 s94, s94, s15
	s_ashr_i32 s15, s94, 7
.Ltmp13:
	.loc	1 90 22                         ; int8_utils_aot.py:90:22
	s_max_i32 s15, s15, 2
	s_cmp_eq_u32 s15, 2
	.loc	1 91 20                         ; int8_utils_aot.py:91:20
	s_waitcnt lgkmcnt(0)
	.loc	1 99 33                         ; int8_utils_aot.py:99:33
	v_mfma_i32_32x32x32_i8 v[2:17], v[106:109], v[62:65], 0
	.loc	1 91 20                         ; int8_utils_aot.py:91:20
	s_barrier
	s_waitcnt vmcnt(18)
	ds_write_b8 v93, v92 offset:16384
	ds_write_b8 v93, a7 offset:18432
	ds_write_b8 v93, a15 offset:20480
	ds_write_b8 v93, a23 offset:22528
	ds_write_b8 v254, v53 offset:16640
	ds_write_b8 v254, a6 offset:18688
	ds_write_b8 v254, a14 offset:20736
	ds_write_b8 v254, a22 offset:22784
	ds_write_b8 v94, a1 offset:16896
	ds_write_b8 v94, a9 offset:18944
	ds_write_b8 v94, a17 offset:20992
	ds_write_b8 v94, a25 offset:23040
	ds_write_b8 v95, a0 offset:17152
	ds_write_b8 v95, a8 offset:19200
	ds_write_b8 v95, a16 offset:21248
	ds_write_b8 v95, a24 offset:23296
	ds_write_b8 v96, a3 offset:17408
	ds_write_b8 v96, a11 offset:19456
	ds_write_b8 v96, a19 offset:21504
	ds_write_b8 v96, a27 offset:23552
	ds_write_b8 v97, a2 offset:17664
	ds_write_b8 v97, a10 offset:19712
	ds_write_b8 v97, a18 offset:21760
	ds_write_b8 v97, a26 offset:23808
	ds_write_b8 v98, a5 offset:17920
	ds_write_b8 v98, a13 offset:19968
	ds_write_b8 v98, a21 offset:22016
	ds_write_b8 v98, a29 offset:24064
	ds_write_b8 v99, a4 offset:18176
	ds_write_b8 v99, a12 offset:20224
	ds_write_b8 v99, a20 offset:22272
	ds_write_b8 v99, a28 offset:24320
	.loc	1 92 20                         ; int8_utils_aot.py:92:20
	ds_write_b8 v93, v73
	ds_write_b8 v93, a36 offset:2048
	ds_write_b8 v93, a44 offset:4096
	;; [unrolled: 1-line block ×63, first 2 shown]
	.loc	1 99 33                         ; int8_utils_aot.py:99:33
	v_mfma_i32_32x32x32_i8 v[18:33], v[110:113], v[80:83], v[18:33]
	v_mfma_i32_32x32x32_i8 v[2:17], v[110:113], v[66:69], v[2:17]
	;; [unrolled: 1-line block ×6, first 2 shown]
	.loc	1 99 39 is_stmt 0               ; int8_utils_aot.py:99:39
	s_nop 10
	v_cvt_f32_i32_e32 v19, v19
	v_cvt_f32_i32_e32 v18, v18
	;; [unrolled: 1-line block ×32, first 2 shown]
	.loc	1 99 53                         ; int8_utils_aot.py:99:53
	s_waitcnt vmcnt(17)
	v_pk_mul_f32 v[18:19], v[70:71], v[18:19] op_sel_hi:[0,1]
	v_pk_mul_f32 v[20:21], v[70:71], v[20:21] op_sel_hi:[0,1]
	;; [unrolled: 1-line block ×8, first 2 shown]
	s_waitcnt vmcnt(16)
	v_pk_mul_f32 v[2:3], v[52:53], v[2:3] op_sel_hi:[0,1]
	v_pk_mul_f32 v[4:5], v[52:53], v[4:5] op_sel_hi:[0,1]
	;; [unrolled: 1-line block ×8, first 2 shown]
	.loc	1 99 23                         ; int8_utils_aot.py:99:23
	s_waitcnt vmcnt(14)
	v_pk_fma_f32 v[226:227], v[36:37], v[18:19], 0 op_sel_hi:[1,1,0]
	s_waitcnt vmcnt(12)
	v_pk_fma_f32 v[224:225], v[38:39], v[20:21], 0 op_sel_hi:[1,1,0]
	;; [unrolled: 2-line block ×8, first 2 shown]
	v_pk_fma_f32 v[210:211], v[36:37], v[2:3], 0 op_sel_hi:[1,1,0]
	v_pk_fma_f32 v[208:209], v[38:39], v[4:5], 0 op_sel_hi:[1,1,0]
	;; [unrolled: 1-line block ×8, first 2 shown]
	.loc	1 90 22 is_stmt 1               ; int8_utils_aot.py:90:22
	s_cbranch_scc1 .LBB0_649
; %bb.454:                              ; %.peel.next
	.loc	1 0 22 is_stmt 0                ; int8_utils_aot.py:0:22
	s_abs_i32 s23, s86
	v_cvt_f32_u32_e32 v1, s23
	s_sub_i32 s78, 0, s23
	s_ashr_i32 s22, s86, 31
	.loc	1 90 22                         ; int8_utils_aot.py:90:22
	s_lshl_b64 s[98:99], s[20:21], 1
	v_rcp_iflag_f32_e32 v1, v1
	s_nop 0
	v_mul_f32_e32 v1, 0x4f7ffffe, v1
	v_cvt_u32_f32_e32 v1, v1
	s_nop 0
	v_readfirstlane_b32 s81, v1
	s_mul_i32 s78, s78, s81
	s_mul_hi_u32 s78, s81, s78
	s_add_i32 s94, s81, s78
	s_add_u32 s4, s4, s98
	s_addc_u32 s5, s5, s99
	s_and_b32 s74, s74, 64
	v_bitop3_b16 v0, s74, v0, 63 bitop3:0xf8
	v_and_b32_e32 v0, 0xffff, v0
	v_mul_lo_u32 v0, s19, v0
	v_add_u32_e32 v228, s6, v0
	v_readlane_b32 s6, v255, 29
	s_lshl_b64 s[98:99], s[10:11], 1
	s_add_u32 s2, s2, s98
	v_add_u32_e32 v234, s6, v0
	v_readlane_b32 s6, v255, 28
	v_add_u32_e32 v230, s96, v0
	v_add_u32_e32 v232, s91, v0
	;; [unrolled: 1-line block ×3, first 2 shown]
	v_readlane_b32 s6, v255, 27
	v_add_u32_e32 v72, s84, v0
	v_ashrrev_i32_e32 v229, 31, v228
	v_add_u32_e32 v238, s6, v0
	v_readlane_b32 s6, v255, 26
	s_addc_u32 s3, s3, s99
	v_ashrrev_i32_e32 v231, 31, v230
	v_add_u32_e32 v240, s6, v0
	v_readlane_b32 s6, v255, 25
	v_ashrrev_i32_e32 v233, 31, v232
	v_ashrrev_i32_e32 v235, 31, v234
	v_add_u32_e32 v242, s6, v0
	v_readlane_b32 s6, v255, 24
	v_ashrrev_i32_e32 v237, 31, v236
	;; [unrolled: 4-line block ×6, first 2 shown]
	s_add_i32 s19, s14, 0xffffff00
	v_add_u32_e32 v252, s6, v0
	v_readlane_b32 s6, v255, 19
	v_ashrrev_i32_e32 v253, 31, v252
	s_movk_i32 s14, 0x100
	v_add_u32_e32 v36, s6, v0
	v_readlane_b32 s6, v255, 18
	v_ashrrev_i32_e32 v37, 31, v36
	s_nop 0
	v_add_u32_e32 v38, s6, v0
	v_readlane_b32 s6, v255, 17
	v_ashrrev_i32_e32 v39, 31, v38
	s_nop 0
	;; [unrolled: 4-line block ×17, first 2 shown]
	v_add_u32_e32 v70, s6, v0
	v_ashrrev_i32_e32 v71, 31, v70
	s_lshl_b32 s6, s15, 7
	s_branch .LBB0_457
.LBB0_455:                              ;   in Loop: Header=BB0_457 Depth=1
	.loc	1 90 22 is_stmt 1               ; int8_utils_aot.py:90:22
	v_lshl_add_u64 v[0:1], s[4:5], 0, v[160:161]
	.loc	1 92 20                         ; int8_utils_aot.py:92:20
	global_load_ubyte a111, v[0:1], off
.LBB0_456:                              ;   in Loop: Header=BB0_457 Depth=1
	.loc	1 100 18                        ; int8_utils_aot.py:100:18
	s_add_i32 s14, s78, 0xffffff80
	.loc	1 95 29                         ; int8_utils_aot.py:95:29
	s_ashr_i32 s15, s14, 31
	s_abs_i32 s14, s14
	s_mul_hi_u32 s74, s14, s94
	s_mul_i32 s81, s74, s23
	s_sub_i32 s14, s14, s81
	s_xor_b32 s15, s15, s22
	s_add_i32 s81, s74, 1
	s_sub_i32 s84, s14, s23
	s_cmp_ge_u32 s14, s23
	s_cselect_b32 s74, s81, s74
	s_cselect_b32 s14, s84, s14
	s_add_i32 s81, s74, 1
	s_cmp_ge_u32 s14, s23
	s_cselect_b32 s14, s81, s74
	s_xor_b32 s14, s14, s15
	s_sub_i32 s74, s14, s15
	.loc	1 96 42                         ; int8_utils_aot.py:96:42
	s_mul_i32 s14, s74, s8
	.loc	1 96 32 is_stmt 0               ; int8_utils_aot.py:96:32
	s_ashr_i32 s15, s14, 31
	s_lshl_b64 s[14:15], s[14:15], 2
	v_lshl_add_u64 v[0:1], v[196:197], 0, s[14:15]
	v_lshl_add_u64 v[2:3], v[194:195], 0, s[14:15]
	.loc	1 97 42 is_stmt 1               ; int8_utils_aot.py:97:42
	s_mul_i32 s14, s74, s9
	.loc	1 97 32 is_stmt 0               ; int8_utils_aot.py:97:32
	s_ashr_i32 s15, s14, 31
	s_lshl_b64 s[14:15], s[14:15], 2
	.loc	1 96 22 is_stmt 1               ; int8_utils_aot.py:96:22
	global_load_dword v92, v[0:1], off
	global_load_dword v74, v[2:3], off
	.loc	1 97 32                         ; int8_utils_aot.py:97:32
	v_lshl_add_u64 v[0:1], v[192:193], 0, s[14:15]
	v_lshl_add_u64 v[84:85], v[176:177], 0, s[14:15]
	;; [unrolled: 1-line block ×16, first 2 shown]
	.loc	1 97 22 is_stmt 0               ; int8_utils_aot.py:97:22
	global_load_dword v76, v[0:1], off
	global_load_dword v77, v[2:3], off
	global_load_dword v78, v[4:5], off
	global_load_dword v79, v[6:7], off
	global_load_dword v80, v[8:9], off
	global_load_dword v81, v[10:11], off
	global_load_dword v82, v[12:13], off
	global_load_dword v83, v[14:15], off
	s_nop 0
	global_load_dword v84, v[84:85], off
	s_nop 0
	global_load_dword v85, v[86:87], off
	;; [unrolled: 2-line block ×3, first 2 shown]
	global_load_dword v87, v[90:91], off
	s_nop 0
	global_load_dword v88, v[106:107], off
	global_load_dword v89, v[108:109], off
	global_load_dword v90, v[110:111], off
	global_load_dword v91, v[112:113], off
	.loc	1 92 20 is_stmt 1               ; int8_utils_aot.py:92:20
	ds_read_b64_tr_b8 a[112:113], v104
	ds_read_b64_tr_b8 a[116:117], v104 offset:4096
	ds_read_b64_tr_b8 a[120:121], v104 offset:8192
	;; [unrolled: 1-line block ×7, first 2 shown]
	.loc	1 99 33                         ; int8_utils_aot.py:99:33
	s_waitcnt lgkmcnt(3)
	v_mfma_i32_32x32x32_i8 v[0:15], a[112:115], v[28:31], 0
	.loc	1 90 22                         ; int8_utils_aot.py:90:22
	s_add_i32 s14, s78, 0x80
	s_add_u32 s4, s4, s20
	s_addc_u32 s5, s5, s21
	s_add_u32 s2, s2, s10
	s_addc_u32 s3, s3, s11
	s_addk_i32 s19, 0xff80
	s_cmp_lg_u32 s6, s14
	.loc	1 99 33                         ; int8_utils_aot.py:99:33
	s_waitcnt lgkmcnt(2)
	v_mfma_i32_32x32x32_i8 v[0:15], a[116:119], v[24:27], v[0:15]
	.loc	1 91 20                         ; int8_utils_aot.py:91:20
	s_waitcnt lgkmcnt(0)
	s_barrier
	s_waitcnt vmcnt(18)
	ds_write_b8 v93, a17 offset:16384
	ds_write_b8 v93, a25 offset:18432
	ds_write_b8 v93, a33 offset:20480
	ds_write_b8 v93, a41 offset:22528
	ds_write_b8 v254, a16 offset:16640
	ds_write_b8 v254, a24 offset:18688
	ds_write_b8 v254, a32 offset:20736
	ds_write_b8 v254, a40 offset:22784
	ds_write_b8 v94, a19 offset:16896
	ds_write_b8 v94, a27 offset:18944
	ds_write_b8 v94, a35 offset:20992
	ds_write_b8 v94, a43 offset:23040
	ds_write_b8 v95, a18 offset:17152
	ds_write_b8 v95, a26 offset:19200
	ds_write_b8 v95, a34 offset:21248
	ds_write_b8 v95, a42 offset:23296
	ds_write_b8 v96, a21 offset:17408
	ds_write_b8 v96, a29 offset:19456
	ds_write_b8 v96, a37 offset:21504
	ds_write_b8 v96, a45 offset:23552
	ds_write_b8 v97, a20 offset:17664
	ds_write_b8 v97, a28 offset:19712
	ds_write_b8 v97, a36 offset:21760
	ds_write_b8 v97, a44 offset:23808
	ds_write_b8 v98, a23 offset:17920
	ds_write_b8 v98, a31 offset:19968
	ds_write_b8 v98, a39 offset:22016
	ds_write_b8 v98, a47 offset:24064
	ds_write_b8 v99, a22 offset:18176
	ds_write_b8 v99, a30 offset:20224
	ds_write_b8 v99, a38 offset:22272
	ds_write_b8 v99, a46 offset:24320
	.loc	1 92 20                         ; int8_utils_aot.py:92:20
	ds_write_b8 v93, a48
	ds_write_b8 v93, a56 offset:2048
	ds_write_b8 v93, a64 offset:4096
	ds_write_b8 v93, a72 offset:6144
	ds_write_b8 v93, a80 offset:8192
	ds_write_b8 v93, a88 offset:10240
	ds_write_b8 v93, a96 offset:12288
	ds_write_b8 v93, a104 offset:14336
	ds_write_b8 v254, a49 offset:256
	ds_write_b8 v254, a57 offset:2304
	ds_write_b8 v254, a65 offset:4352
	ds_write_b8 v254, a73 offset:6400
	ds_write_b8 v254, a81 offset:8448
	ds_write_b8 v254, a89 offset:10496
	ds_write_b8 v254, a97 offset:12544
	ds_write_b8 v254, a105 offset:14592
	ds_write_b8 v94, a50 offset:512
	ds_write_b8 v94, a58 offset:2560
	ds_write_b8 v94, a66 offset:4608
	ds_write_b8 v94, a74 offset:6656
	ds_write_b8 v94, a82 offset:8704
	ds_write_b8 v94, a90 offset:10752
	ds_write_b8 v94, a98 offset:12800
	ds_write_b8 v94, a106 offset:14848
	ds_write_b8 v95, a51 offset:768
	ds_write_b8 v95, a59 offset:2816
	ds_write_b8 v95, a67 offset:4864
	ds_write_b8 v95, a75 offset:6912
	ds_write_b8 v95, a83 offset:8960
	ds_write_b8 v95, a91 offset:11008
	ds_write_b8 v95, a99 offset:13056
	ds_write_b8 v95, a107 offset:15104
	ds_write_b8 v96, a52 offset:1024
	ds_write_b8 v96, a60 offset:3072
	ds_write_b8 v96, a68 offset:5120
	ds_write_b8 v96, a76 offset:7168
	ds_write_b8 v96, a84 offset:9216
	ds_write_b8 v96, a92 offset:11264
	ds_write_b8 v96, a100 offset:13312
	ds_write_b8 v96, a108 offset:15360
	ds_write_b8 v97, a53 offset:1280
	ds_write_b8 v97, a61 offset:3328
	ds_write_b8 v97, a69 offset:5376
	ds_write_b8 v97, a77 offset:7424
	ds_write_b8 v97, a85 offset:9472
	ds_write_b8 v97, a93 offset:11520
	ds_write_b8 v97, a101 offset:13568
	ds_write_b8 v97, a109 offset:15616
	ds_write_b8 v98, a54 offset:1536
	ds_write_b8 v98, a62 offset:3584
	ds_write_b8 v98, a70 offset:5632
	ds_write_b8 v98, a78 offset:7680
	ds_write_b8 v98, a86 offset:9728
	ds_write_b8 v98, a94 offset:11776
	ds_write_b8 v98, a102 offset:13824
	ds_write_b8 v98, a110 offset:15872
	ds_write_b8 v99, a55 offset:1792
	ds_write_b8 v99, a63 offset:3840
	ds_write_b8 v99, a71 offset:5888
	ds_write_b8 v99, a79 offset:7936
	ds_write_b8 v99, a87 offset:9984
	ds_write_b8 v99, a95 offset:12032
	ds_write_b8 v99, a103 offset:14080
	ds_write_b8 v99, a111 offset:16128
	.loc	1 99 33                         ; int8_utils_aot.py:99:33
	v_mfma_i32_32x32x32_i8 v[0:15], a[120:123], v[20:23], v[0:15]
	v_mfma_i32_32x32x32_i8 v[0:15], a[124:127], v[16:19], v[0:15]
	;; [unrolled: 1-line block ×3, first 2 shown]
	.loc	1 99 39 is_stmt 0               ; int8_utils_aot.py:99:39
	s_nop 10
	v_cvt_f32_i32_e32 v1, v1
	v_cvt_f32_i32_e32 v0, v0
	;; [unrolled: 1-line block ×3, first 2 shown]
	.loc	1 99 33                         ; int8_utils_aot.py:99:33
	v_mfma_i32_32x32x32_i8 v[16:31], a[116:119], a[8:11], v[16:31]
	.loc	1 99 39                         ; int8_utils_aot.py:99:39
	v_cvt_f32_i32_e32 v2, v2
	v_cvt_f32_i32_e32 v5, v5
	v_cvt_f32_i32_e32 v4, v4
	v_cvt_f32_i32_e32 v7, v7
	v_cvt_f32_i32_e32 v6, v6
	v_cvt_f32_i32_e32 v9, v9
	v_cvt_f32_i32_e32 v8, v8
	.loc	1 99 33                         ; int8_utils_aot.py:99:33
	v_mfma_i32_32x32x32_i8 v[16:31], a[120:123], a[4:7], v[16:31]
	.loc	1 99 39                         ; int8_utils_aot.py:99:39
	v_cvt_f32_i32_e32 v11, v11
	v_cvt_f32_i32_e32 v10, v10
	;; [unrolled: 1-line block ×6, first 2 shown]
	.loc	1 99 53                         ; int8_utils_aot.py:99:53
	s_waitcnt vmcnt(17)
	v_pk_mul_f32 v[0:1], v[92:93], v[0:1] op_sel_hi:[0,1]
	.loc	1 99 33                         ; int8_utils_aot.py:99:33
	v_mfma_i32_32x32x32_i8 v[16:31], a[124:127], a[0:3], v[16:31]
	.loc	1 99 53                         ; int8_utils_aot.py:99:53
	v_mul_f32_e64 v2, v92, v2
	v_mul_f32_e64 v3, v92, v3
	;; [unrolled: 1-line block ×6, first 2 shown]
	v_pk_mul_f32 v[8:9], v[92:93], v[8:9] op_sel_hi:[0,1]
	v_pk_mul_f32 v[10:11], v[92:93], v[10:11] op_sel_hi:[0,1]
	;; [unrolled: 1-line block ×4, first 2 shown]
	.loc	1 99 23                         ; int8_utils_aot.py:99:23
	s_waitcnt vmcnt(14)
	v_pk_fma_f32 v[226:227], v[76:77], v[0:1], v[226:227]
	s_waitcnt vmcnt(12)
	v_pk_fma_f32 v[224:225], v[78:79], v[2:3], v[224:225]
	;; [unrolled: 2-line block ×5, first 2 shown]
	.loc	1 99 39                         ; int8_utils_aot.py:99:39
	v_cvt_f32_i32_e32 v17, v17
	v_cvt_f32_i32_e32 v16, v16
	;; [unrolled: 1-line block ×16, first 2 shown]
	.loc	1 99 53                         ; int8_utils_aot.py:99:53
	v_pk_mul_f32 v[16:17], v[74:75], v[16:17] op_sel_hi:[0,1]
	v_pk_mul_f32 v[18:19], v[74:75], v[18:19] op_sel_hi:[0,1]
	;; [unrolled: 1-line block ×8, first 2 shown]
	.loc	1 99 23                         ; int8_utils_aot.py:99:23
	s_waitcnt vmcnt(4)
	v_pk_fma_f32 v[216:217], v[86:87], v[10:11], v[216:217]
	s_waitcnt vmcnt(2)
	v_pk_fma_f32 v[214:215], v[88:89], v[12:13], v[214:215]
	;; [unrolled: 2-line block ×3, first 2 shown]
	v_pk_fma_f32 v[210:211], v[76:77], v[16:17], v[210:211]
	v_pk_fma_f32 v[208:209], v[78:79], v[18:19], v[208:209]
	;; [unrolled: 1-line block ×8, first 2 shown]
	.loc	1 90 22 is_stmt 1               ; int8_utils_aot.py:90:22
	s_cbranch_scc0 .LBB0_650
.LBB0_457:                              ; =>This Inner Loop Header: Depth=1
	.loc	1 0 22 is_stmt 0                ; int8_utils_aot.py:0:22
	s_mov_b32 s78, s14
	.loc	1 91 51 is_stmt 1               ; int8_utils_aot.py:91:51
	v_cmp_gt_i32_e32 vcc, s19, v75
	v_accvgpr_write_b32 a16, 0
	v_accvgpr_write_b32 a17, 0
	.loc	1 91 20 is_stmt 0               ; int8_utils_aot.py:91:20
	s_and_saveexec_b64 s[14:15], vcc
	s_cbranch_execz .LBB0_459
; %bb.458:                              ;   in Loop: Header=BB0_457 Depth=1
	.loc	1 100 18 is_stmt 1              ; int8_utils_aot.py:100:18
	v_lshl_add_u64 v[0:1], s[2:3], 0, v[72:73]
	.loc	1 91 20                         ; int8_utils_aot.py:91:20
	global_load_ubyte a17, v[0:1], off
.LBB0_459:                              ;   in Loop: Header=BB0_457 Depth=1
	.loc	1 0 20 is_stmt 0                ; int8_utils_aot.py:0:20
	s_or_b64 exec, exec, s[14:15]
	.loc	1 91 20                         ; int8_utils_aot.py:91:20
	s_and_saveexec_b64 s[14:15], vcc
	s_cbranch_execz .LBB0_461
; %bb.460:                              ;   in Loop: Header=BB0_457 Depth=1
	.loc	1 100 18 is_stmt 1              ; int8_utils_aot.py:100:18
	v_lshl_add_u64 v[0:1], s[2:3], 0, v[70:71]
	.loc	1 91 20                         ; int8_utils_aot.py:91:20
	global_load_ubyte a16, v[0:1], off
.LBB0_461:                              ;   in Loop: Header=BB0_457 Depth=1
	.loc	1 0 20 is_stmt 0                ; int8_utils_aot.py:0:20
	s_or_b64 exec, exec, s[14:15]
	v_accvgpr_write_b32 a18, 0
	v_accvgpr_write_b32 a19, 0
	.loc	1 91 20                         ; int8_utils_aot.py:91:20
	s_and_saveexec_b64 s[14:15], vcc
	s_cbranch_execz .LBB0_463
; %bb.462:                              ;   in Loop: Header=BB0_457 Depth=1
	.loc	1 100 18 is_stmt 1              ; int8_utils_aot.py:100:18
	v_lshl_add_u64 v[0:1], s[2:3], 0, v[68:69]
	.loc	1 91 20                         ; int8_utils_aot.py:91:20
	global_load_ubyte a19, v[0:1], off
.LBB0_463:                              ;   in Loop: Header=BB0_457 Depth=1
	.loc	1 0 20 is_stmt 0                ; int8_utils_aot.py:0:20
	s_or_b64 exec, exec, s[14:15]
	.loc	1 91 20                         ; int8_utils_aot.py:91:20
	s_and_saveexec_b64 s[14:15], vcc
	s_cbranch_execz .LBB0_465
; %bb.464:                              ;   in Loop: Header=BB0_457 Depth=1
	.loc	1 100 18 is_stmt 1              ; int8_utils_aot.py:100:18
	v_lshl_add_u64 v[0:1], s[2:3], 0, v[66:67]
	.loc	1 91 20                         ; int8_utils_aot.py:91:20
	global_load_ubyte a18, v[0:1], off
.LBB0_465:                              ;   in Loop: Header=BB0_457 Depth=1
	.loc	1 0 20 is_stmt 0                ; int8_utils_aot.py:0:20
	s_or_b64 exec, exec, s[14:15]
	v_accvgpr_write_b32 a20, 0
	v_accvgpr_write_b32 a21, 0
	.loc	1 91 20                         ; int8_utils_aot.py:91:20
	;; [unrolled: 24-line block ×15, first 2 shown]
	s_and_saveexec_b64 s[14:15], vcc
	s_cbranch_execz .LBB0_519
; %bb.518:                              ;   in Loop: Header=BB0_457 Depth=1
	.loc	1 100 18 is_stmt 1              ; int8_utils_aot.py:100:18
	v_lshl_add_u64 v[0:1], s[2:3], 0, v[230:231]
	.loc	1 91 20                         ; int8_utils_aot.py:91:20
	global_load_ubyte a47, v[0:1], off
.LBB0_519:                              ;   in Loop: Header=BB0_457 Depth=1
	.loc	1 0 20 is_stmt 0                ; int8_utils_aot.py:0:20
	s_or_b64 exec, exec, s[14:15]
	.loc	1 91 20                         ; int8_utils_aot.py:91:20
	s_and_saveexec_b64 s[14:15], vcc
	s_cbranch_execz .LBB0_521
; %bb.520:                              ;   in Loop: Header=BB0_457 Depth=1
	.loc	1 101 18 is_stmt 1              ; int8_utils_aot.py:101:18
	v_lshl_add_u64 v[0:1], s[2:3], 0, v[228:229]
	.loc	1 91 20                         ; int8_utils_aot.py:91:20
	global_load_ubyte a46, v[0:1], off
.LBB0_521:                              ;   in Loop: Header=BB0_457 Depth=1
	.loc	1 0 20 is_stmt 0                ; int8_utils_aot.py:0:20
	s_or_b64 exec, exec, s[14:15]
	.loc	1 91 20                         ; int8_utils_aot.py:91:20
	s_waitcnt lgkmcnt(0)
	s_barrier
	ds_read_b128 v[28:31], v100 offset:16384
	ds_read_b128 a[12:15], v100 offset:20480
	;; [unrolled: 1-line block ×8, first 2 shown]
	.loc	1 92 51 is_stmt 1               ; int8_utils_aot.py:92:51
	s_cmp_ge_i32 s26, s19
	.loc	1 92 20 is_stmt 0               ; int8_utils_aot.py:92:20
	s_cbranch_scc1 .LBB0_585
; %bb.522:                              ;   in Loop: Header=BB0_457 Depth=1
	.loc	1 101 18 is_stmt 1              ; int8_utils_aot.py:101:18
	v_lshl_add_u64 v[0:1], s[4:5], 0, v[34:35]
	.loc	1 92 20                         ; int8_utils_aot.py:92:20
	global_load_ubyte a48, v[0:1], off
	.loc	1 92 51 is_stmt 0               ; int8_utils_aot.py:92:51
	s_cmp_ge_i32 s27, s19
	.loc	1 92 20                         ; int8_utils_aot.py:92:20
	s_cbranch_scc0 .LBB0_586
.LBB0_523:                              ;   in Loop: Header=BB0_457 Depth=1
	.loc	1 0 20                          ; int8_utils_aot.py:0:20
	v_accvgpr_write_b32 a49, 0
	.loc	1 92 51                         ; int8_utils_aot.py:92:51
	s_cmp_ge_i32 s28, s19
	.loc	1 92 20                         ; int8_utils_aot.py:92:20
	s_cbranch_scc0 .LBB0_587
.LBB0_524:                              ;   in Loop: Header=BB0_457 Depth=1
	.loc	1 0 20                          ; int8_utils_aot.py:0:20
	v_accvgpr_write_b32 a50, 0
	.loc	1 92 51                         ; int8_utils_aot.py:92:51
	s_cmp_ge_i32 s29, s19
	.loc	1 92 20                         ; int8_utils_aot.py:92:20
	s_cbranch_scc0 .LBB0_588
.LBB0_525:                              ;   in Loop: Header=BB0_457 Depth=1
	.loc	1 0 20                          ; int8_utils_aot.py:0:20
	v_accvgpr_write_b32 a51, 0
	.loc	1 92 51                         ; int8_utils_aot.py:92:51
	s_cmp_ge_i32 s30, s19
	.loc	1 92 20                         ; int8_utils_aot.py:92:20
	s_cbranch_scc0 .LBB0_589
.LBB0_526:                              ;   in Loop: Header=BB0_457 Depth=1
	.loc	1 0 20                          ; int8_utils_aot.py:0:20
	v_accvgpr_write_b32 a52, 0
	.loc	1 92 51                         ; int8_utils_aot.py:92:51
	s_cmp_ge_i32 s31, s19
	.loc	1 92 20                         ; int8_utils_aot.py:92:20
	s_cbranch_scc0 .LBB0_590
.LBB0_527:                              ;   in Loop: Header=BB0_457 Depth=1
	.loc	1 0 20                          ; int8_utils_aot.py:0:20
	v_accvgpr_write_b32 a53, 0
	.loc	1 92 51                         ; int8_utils_aot.py:92:51
	s_cmp_ge_i32 s34, s19
	.loc	1 92 20                         ; int8_utils_aot.py:92:20
	s_cbranch_scc0 .LBB0_591
.LBB0_528:                              ;   in Loop: Header=BB0_457 Depth=1
	.loc	1 0 20                          ; int8_utils_aot.py:0:20
	v_accvgpr_write_b32 a54, 0
	.loc	1 92 51                         ; int8_utils_aot.py:92:51
	s_cmp_ge_i32 s35, s19
	.loc	1 92 20                         ; int8_utils_aot.py:92:20
	s_cbranch_scc0 .LBB0_592
.LBB0_529:                              ;   in Loop: Header=BB0_457 Depth=1
	.loc	1 0 20                          ; int8_utils_aot.py:0:20
	v_accvgpr_write_b32 a55, 0
	.loc	1 92 51                         ; int8_utils_aot.py:92:51
	s_cmp_ge_i32 s36, s19
	.loc	1 92 20                         ; int8_utils_aot.py:92:20
	s_cbranch_scc0 .LBB0_593
.LBB0_530:                              ;   in Loop: Header=BB0_457 Depth=1
	.loc	1 0 20                          ; int8_utils_aot.py:0:20
	v_accvgpr_write_b32 a56, 0
	.loc	1 92 51                         ; int8_utils_aot.py:92:51
	s_cmp_ge_i32 s37, s19
	.loc	1 92 20                         ; int8_utils_aot.py:92:20
	s_cbranch_scc0 .LBB0_594
.LBB0_531:                              ;   in Loop: Header=BB0_457 Depth=1
	.loc	1 0 20                          ; int8_utils_aot.py:0:20
	v_accvgpr_write_b32 a57, 0
	.loc	1 92 51                         ; int8_utils_aot.py:92:51
	s_cmp_ge_i32 s38, s19
	.loc	1 92 20                         ; int8_utils_aot.py:92:20
	s_cbranch_scc0 .LBB0_595
.LBB0_532:                              ;   in Loop: Header=BB0_457 Depth=1
	.loc	1 0 20                          ; int8_utils_aot.py:0:20
	v_accvgpr_write_b32 a58, 0
	.loc	1 92 51                         ; int8_utils_aot.py:92:51
	s_cmp_ge_i32 s39, s19
	.loc	1 92 20                         ; int8_utils_aot.py:92:20
	s_cbranch_scc0 .LBB0_596
.LBB0_533:                              ;   in Loop: Header=BB0_457 Depth=1
	.loc	1 0 20                          ; int8_utils_aot.py:0:20
	v_accvgpr_write_b32 a59, 0
	.loc	1 92 51                         ; int8_utils_aot.py:92:51
	s_cmp_ge_i32 s40, s19
	.loc	1 92 20                         ; int8_utils_aot.py:92:20
	s_cbranch_scc0 .LBB0_597
.LBB0_534:                              ;   in Loop: Header=BB0_457 Depth=1
	.loc	1 0 20                          ; int8_utils_aot.py:0:20
	v_accvgpr_write_b32 a60, 0
	.loc	1 92 51                         ; int8_utils_aot.py:92:51
	s_cmp_ge_i32 s41, s19
	.loc	1 92 20                         ; int8_utils_aot.py:92:20
	s_cbranch_scc0 .LBB0_598
.LBB0_535:                              ;   in Loop: Header=BB0_457 Depth=1
	.loc	1 0 20                          ; int8_utils_aot.py:0:20
	v_accvgpr_write_b32 a61, 0
	.loc	1 92 51                         ; int8_utils_aot.py:92:51
	s_cmp_ge_i32 s42, s19
	.loc	1 92 20                         ; int8_utils_aot.py:92:20
	s_cbranch_scc0 .LBB0_599
.LBB0_536:                              ;   in Loop: Header=BB0_457 Depth=1
	.loc	1 0 20                          ; int8_utils_aot.py:0:20
	v_accvgpr_write_b32 a62, 0
	.loc	1 92 51                         ; int8_utils_aot.py:92:51
	s_cmp_ge_i32 s43, s19
	.loc	1 92 20                         ; int8_utils_aot.py:92:20
	s_cbranch_scc0 .LBB0_600
.LBB0_537:                              ;   in Loop: Header=BB0_457 Depth=1
	.loc	1 0 20                          ; int8_utils_aot.py:0:20
	v_accvgpr_write_b32 a63, 0
	.loc	1 92 51                         ; int8_utils_aot.py:92:51
	s_cmp_ge_i32 s44, s19
	.loc	1 92 20                         ; int8_utils_aot.py:92:20
	s_cbranch_scc0 .LBB0_601
.LBB0_538:                              ;   in Loop: Header=BB0_457 Depth=1
	.loc	1 0 20                          ; int8_utils_aot.py:0:20
	v_accvgpr_write_b32 a64, 0
	.loc	1 92 51                         ; int8_utils_aot.py:92:51
	s_cmp_ge_i32 s45, s19
	.loc	1 92 20                         ; int8_utils_aot.py:92:20
	s_cbranch_scc0 .LBB0_602
.LBB0_539:                              ;   in Loop: Header=BB0_457 Depth=1
	.loc	1 0 20                          ; int8_utils_aot.py:0:20
	v_accvgpr_write_b32 a65, 0
	.loc	1 92 51                         ; int8_utils_aot.py:92:51
	s_cmp_ge_i32 s46, s19
	.loc	1 92 20                         ; int8_utils_aot.py:92:20
	s_cbranch_scc0 .LBB0_603
.LBB0_540:                              ;   in Loop: Header=BB0_457 Depth=1
	.loc	1 0 20                          ; int8_utils_aot.py:0:20
	v_accvgpr_write_b32 a66, 0
	.loc	1 92 51                         ; int8_utils_aot.py:92:51
	s_cmp_ge_i32 s47, s19
	.loc	1 92 20                         ; int8_utils_aot.py:92:20
	s_cbranch_scc0 .LBB0_604
.LBB0_541:                              ;   in Loop: Header=BB0_457 Depth=1
	.loc	1 0 20                          ; int8_utils_aot.py:0:20
	v_accvgpr_write_b32 a67, 0
	.loc	1 92 51                         ; int8_utils_aot.py:92:51
	s_cmp_ge_i32 s48, s19
	.loc	1 92 20                         ; int8_utils_aot.py:92:20
	s_cbranch_scc0 .LBB0_605
.LBB0_542:                              ;   in Loop: Header=BB0_457 Depth=1
	.loc	1 0 20                          ; int8_utils_aot.py:0:20
	v_accvgpr_write_b32 a68, 0
	.loc	1 92 51                         ; int8_utils_aot.py:92:51
	s_cmp_ge_i32 s49, s19
	.loc	1 92 20                         ; int8_utils_aot.py:92:20
	s_cbranch_scc0 .LBB0_606
.LBB0_543:                              ;   in Loop: Header=BB0_457 Depth=1
	.loc	1 0 20                          ; int8_utils_aot.py:0:20
	v_accvgpr_write_b32 a69, 0
	.loc	1 92 51                         ; int8_utils_aot.py:92:51
	s_cmp_ge_i32 s50, s19
	.loc	1 92 20                         ; int8_utils_aot.py:92:20
	s_cbranch_scc0 .LBB0_607
.LBB0_544:                              ;   in Loop: Header=BB0_457 Depth=1
	.loc	1 0 20                          ; int8_utils_aot.py:0:20
	v_accvgpr_write_b32 a70, 0
	.loc	1 92 51                         ; int8_utils_aot.py:92:51
	s_cmp_ge_i32 s51, s19
	.loc	1 92 20                         ; int8_utils_aot.py:92:20
	s_cbranch_scc0 .LBB0_608
.LBB0_545:                              ;   in Loop: Header=BB0_457 Depth=1
	.loc	1 0 20                          ; int8_utils_aot.py:0:20
	v_accvgpr_write_b32 a71, 0
	.loc	1 92 51                         ; int8_utils_aot.py:92:51
	s_cmp_ge_i32 s52, s19
	.loc	1 92 20                         ; int8_utils_aot.py:92:20
	s_cbranch_scc0 .LBB0_609
.LBB0_546:                              ;   in Loop: Header=BB0_457 Depth=1
	.loc	1 0 20                          ; int8_utils_aot.py:0:20
	v_accvgpr_write_b32 a72, 0
	.loc	1 92 51                         ; int8_utils_aot.py:92:51
	s_cmp_ge_i32 s53, s19
	.loc	1 92 20                         ; int8_utils_aot.py:92:20
	s_cbranch_scc0 .LBB0_610
.LBB0_547:                              ;   in Loop: Header=BB0_457 Depth=1
	.loc	1 0 20                          ; int8_utils_aot.py:0:20
	v_accvgpr_write_b32 a73, 0
	.loc	1 92 51                         ; int8_utils_aot.py:92:51
	s_cmp_ge_i32 s54, s19
	.loc	1 92 20                         ; int8_utils_aot.py:92:20
	s_cbranch_scc0 .LBB0_611
.LBB0_548:                              ;   in Loop: Header=BB0_457 Depth=1
	.loc	1 0 20                          ; int8_utils_aot.py:0:20
	v_accvgpr_write_b32 a74, 0
	.loc	1 92 51                         ; int8_utils_aot.py:92:51
	s_cmp_ge_i32 s55, s19
	.loc	1 92 20                         ; int8_utils_aot.py:92:20
	s_cbranch_scc0 .LBB0_612
.LBB0_549:                              ;   in Loop: Header=BB0_457 Depth=1
	.loc	1 0 20                          ; int8_utils_aot.py:0:20
	v_accvgpr_write_b32 a75, 0
	.loc	1 92 51                         ; int8_utils_aot.py:92:51
	s_cmp_ge_i32 s56, s19
	.loc	1 92 20                         ; int8_utils_aot.py:92:20
	s_cbranch_scc0 .LBB0_613
.LBB0_550:                              ;   in Loop: Header=BB0_457 Depth=1
	.loc	1 0 20                          ; int8_utils_aot.py:0:20
	v_accvgpr_write_b32 a76, 0
	.loc	1 92 51                         ; int8_utils_aot.py:92:51
	s_cmp_ge_i32 s57, s19
	.loc	1 92 20                         ; int8_utils_aot.py:92:20
	s_cbranch_scc0 .LBB0_614
.LBB0_551:                              ;   in Loop: Header=BB0_457 Depth=1
	.loc	1 0 20                          ; int8_utils_aot.py:0:20
	v_accvgpr_write_b32 a77, 0
	.loc	1 92 51                         ; int8_utils_aot.py:92:51
	s_cmp_ge_i32 s58, s19
	.loc	1 92 20                         ; int8_utils_aot.py:92:20
	s_cbranch_scc0 .LBB0_615
.LBB0_552:                              ;   in Loop: Header=BB0_457 Depth=1
	.loc	1 0 20                          ; int8_utils_aot.py:0:20
	v_accvgpr_write_b32 a78, 0
	.loc	1 92 51                         ; int8_utils_aot.py:92:51
	s_cmp_ge_i32 s59, s19
	.loc	1 92 20                         ; int8_utils_aot.py:92:20
	s_cbranch_scc0 .LBB0_616
.LBB0_553:                              ;   in Loop: Header=BB0_457 Depth=1
	.loc	1 0 20                          ; int8_utils_aot.py:0:20
	v_accvgpr_write_b32 a79, 0
	.loc	1 92 51                         ; int8_utils_aot.py:92:51
	s_cmp_ge_i32 s24, s19
	.loc	1 92 20                         ; int8_utils_aot.py:92:20
	s_cbranch_scc0 .LBB0_617
.LBB0_554:                              ;   in Loop: Header=BB0_457 Depth=1
	.loc	1 0 20                          ; int8_utils_aot.py:0:20
	v_accvgpr_write_b32 a80, 0
	.loc	1 92 51                         ; int8_utils_aot.py:92:51
	s_cmp_ge_i32 s25, s19
	.loc	1 92 20                         ; int8_utils_aot.py:92:20
	s_cbranch_scc0 .LBB0_618
.LBB0_555:                              ;   in Loop: Header=BB0_457 Depth=1
	.loc	1 0 20                          ; int8_utils_aot.py:0:20
	v_accvgpr_write_b32 a81, 0
	.loc	1 92 51                         ; int8_utils_aot.py:92:51
	s_cmp_ge_i32 s60, s19
	.loc	1 92 20                         ; int8_utils_aot.py:92:20
	s_cbranch_scc0 .LBB0_619
.LBB0_556:                              ;   in Loop: Header=BB0_457 Depth=1
	.loc	1 0 20                          ; int8_utils_aot.py:0:20
	v_accvgpr_write_b32 a82, 0
	.loc	1 92 51                         ; int8_utils_aot.py:92:51
	s_cmp_ge_i32 s61, s19
	.loc	1 92 20                         ; int8_utils_aot.py:92:20
	s_cbranch_scc0 .LBB0_620
.LBB0_557:                              ;   in Loop: Header=BB0_457 Depth=1
	.loc	1 0 20                          ; int8_utils_aot.py:0:20
	v_accvgpr_write_b32 a83, 0
	.loc	1 92 51                         ; int8_utils_aot.py:92:51
	s_cmp_ge_i32 s62, s19
	.loc	1 92 20                         ; int8_utils_aot.py:92:20
	s_cbranch_scc0 .LBB0_621
.LBB0_558:                              ;   in Loop: Header=BB0_457 Depth=1
	.loc	1 0 20                          ; int8_utils_aot.py:0:20
	v_accvgpr_write_b32 a84, 0
	.loc	1 92 51                         ; int8_utils_aot.py:92:51
	s_cmp_ge_i32 s63, s19
	.loc	1 92 20                         ; int8_utils_aot.py:92:20
	s_cbranch_scc0 .LBB0_622
.LBB0_559:                              ;   in Loop: Header=BB0_457 Depth=1
	.loc	1 0 20                          ; int8_utils_aot.py:0:20
	v_accvgpr_write_b32 a85, 0
	.loc	1 92 51                         ; int8_utils_aot.py:92:51
	s_cmp_ge_i32 s64, s19
	.loc	1 92 20                         ; int8_utils_aot.py:92:20
	s_cbranch_scc0 .LBB0_623
.LBB0_560:                              ;   in Loop: Header=BB0_457 Depth=1
	.loc	1 0 20                          ; int8_utils_aot.py:0:20
	v_accvgpr_write_b32 a86, 0
	.loc	1 92 51                         ; int8_utils_aot.py:92:51
	s_cmp_ge_i32 s65, s19
	.loc	1 92 20                         ; int8_utils_aot.py:92:20
	s_cbranch_scc0 .LBB0_624
.LBB0_561:                              ;   in Loop: Header=BB0_457 Depth=1
	.loc	1 0 20                          ; int8_utils_aot.py:0:20
	v_accvgpr_write_b32 a87, 0
	.loc	1 92 51                         ; int8_utils_aot.py:92:51
	s_cmp_ge_i32 s66, s19
	.loc	1 92 20                         ; int8_utils_aot.py:92:20
	s_cbranch_scc0 .LBB0_625
.LBB0_562:                              ;   in Loop: Header=BB0_457 Depth=1
	.loc	1 0 20                          ; int8_utils_aot.py:0:20
	v_accvgpr_write_b32 a88, 0
	.loc	1 92 51                         ; int8_utils_aot.py:92:51
	s_cmp_ge_i32 s67, s19
	.loc	1 92 20                         ; int8_utils_aot.py:92:20
	s_cbranch_scc0 .LBB0_626
.LBB0_563:                              ;   in Loop: Header=BB0_457 Depth=1
	.loc	1 0 20                          ; int8_utils_aot.py:0:20
	v_accvgpr_write_b32 a89, 0
	.loc	1 92 51                         ; int8_utils_aot.py:92:51
	s_cmp_ge_i32 s68, s19
	.loc	1 92 20                         ; int8_utils_aot.py:92:20
	s_cbranch_scc0 .LBB0_627
.LBB0_564:                              ;   in Loop: Header=BB0_457 Depth=1
	.loc	1 0 20                          ; int8_utils_aot.py:0:20
	v_accvgpr_write_b32 a90, 0
	.loc	1 92 51                         ; int8_utils_aot.py:92:51
	s_cmp_ge_i32 s69, s19
	.loc	1 92 20                         ; int8_utils_aot.py:92:20
	s_cbranch_scc0 .LBB0_628
.LBB0_565:                              ;   in Loop: Header=BB0_457 Depth=1
	.loc	1 0 20                          ; int8_utils_aot.py:0:20
	v_accvgpr_write_b32 a91, 0
	.loc	1 92 51                         ; int8_utils_aot.py:92:51
	s_cmp_ge_i32 s70, s19
	.loc	1 92 20                         ; int8_utils_aot.py:92:20
	s_cbranch_scc0 .LBB0_629
.LBB0_566:                              ;   in Loop: Header=BB0_457 Depth=1
	.loc	1 0 20                          ; int8_utils_aot.py:0:20
	v_accvgpr_write_b32 a92, 0
	.loc	1 92 51                         ; int8_utils_aot.py:92:51
	s_cmp_ge_i32 s71, s19
	.loc	1 92 20                         ; int8_utils_aot.py:92:20
	s_cbranch_scc0 .LBB0_630
.LBB0_567:                              ;   in Loop: Header=BB0_457 Depth=1
	.loc	1 0 20                          ; int8_utils_aot.py:0:20
	v_accvgpr_write_b32 a93, 0
	.loc	1 92 51                         ; int8_utils_aot.py:92:51
	s_cmp_ge_i32 s73, s19
	.loc	1 92 20                         ; int8_utils_aot.py:92:20
	s_cbranch_scc0 .LBB0_631
.LBB0_568:                              ;   in Loop: Header=BB0_457 Depth=1
	.loc	1 0 20                          ; int8_utils_aot.py:0:20
	v_accvgpr_write_b32 a94, 0
	.loc	1 92 51                         ; int8_utils_aot.py:92:51
	s_cmp_ge_i32 s75, s19
	.loc	1 92 20                         ; int8_utils_aot.py:92:20
	s_cbranch_scc0 .LBB0_632
.LBB0_569:                              ;   in Loop: Header=BB0_457 Depth=1
	.loc	1 0 20                          ; int8_utils_aot.py:0:20
	v_accvgpr_write_b32 a95, 0
	.loc	1 92 51                         ; int8_utils_aot.py:92:51
	s_cmp_ge_i32 s77, s19
	.loc	1 92 20                         ; int8_utils_aot.py:92:20
	s_cbranch_scc0 .LBB0_633
.LBB0_570:                              ;   in Loop: Header=BB0_457 Depth=1
	.loc	1 0 20                          ; int8_utils_aot.py:0:20
	v_accvgpr_write_b32 a96, 0
	.loc	1 92 51                         ; int8_utils_aot.py:92:51
	s_cmp_ge_i32 s79, s19
	.loc	1 92 20                         ; int8_utils_aot.py:92:20
	s_cbranch_scc0 .LBB0_634
.LBB0_571:                              ;   in Loop: Header=BB0_457 Depth=1
	.loc	1 0 20                          ; int8_utils_aot.py:0:20
	v_accvgpr_write_b32 a97, 0
	.loc	1 92 51                         ; int8_utils_aot.py:92:51
	s_cmp_ge_i32 s80, s19
	.loc	1 92 20                         ; int8_utils_aot.py:92:20
	s_cbranch_scc0 .LBB0_635
.LBB0_572:                              ;   in Loop: Header=BB0_457 Depth=1
	.loc	1 0 20                          ; int8_utils_aot.py:0:20
	v_accvgpr_write_b32 a98, 0
	.loc	1 92 51                         ; int8_utils_aot.py:92:51
	s_cmp_ge_i32 s82, s19
	.loc	1 92 20                         ; int8_utils_aot.py:92:20
	s_cbranch_scc0 .LBB0_636
.LBB0_573:                              ;   in Loop: Header=BB0_457 Depth=1
	.loc	1 0 20                          ; int8_utils_aot.py:0:20
	v_accvgpr_write_b32 a99, 0
	.loc	1 92 51                         ; int8_utils_aot.py:92:51
	s_cmp_ge_i32 s83, s19
	.loc	1 92 20                         ; int8_utils_aot.py:92:20
	s_cbranch_scc0 .LBB0_637
.LBB0_574:                              ;   in Loop: Header=BB0_457 Depth=1
	.loc	1 0 20                          ; int8_utils_aot.py:0:20
	v_accvgpr_write_b32 a100, 0
	.loc	1 92 51                         ; int8_utils_aot.py:92:51
	s_cmp_ge_i32 s85, s19
	.loc	1 92 20                         ; int8_utils_aot.py:92:20
	s_cbranch_scc0 .LBB0_638
.LBB0_575:                              ;   in Loop: Header=BB0_457 Depth=1
	.loc	1 0 20                          ; int8_utils_aot.py:0:20
	v_accvgpr_write_b32 a101, 0
	.loc	1 92 51                         ; int8_utils_aot.py:92:51
	s_cmp_ge_i32 s87, s19
	.loc	1 92 20                         ; int8_utils_aot.py:92:20
	s_cbranch_scc0 .LBB0_639
.LBB0_576:                              ;   in Loop: Header=BB0_457 Depth=1
	.loc	1 0 20                          ; int8_utils_aot.py:0:20
	v_accvgpr_write_b32 a102, 0
	.loc	1 92 51                         ; int8_utils_aot.py:92:51
	s_cmp_ge_i32 s88, s19
	.loc	1 92 20                         ; int8_utils_aot.py:92:20
	s_cbranch_scc0 .LBB0_640
.LBB0_577:                              ;   in Loop: Header=BB0_457 Depth=1
	.loc	1 0 20                          ; int8_utils_aot.py:0:20
	v_accvgpr_write_b32 a103, 0
	.loc	1 92 51                         ; int8_utils_aot.py:92:51
	s_cmp_ge_i32 s90, s19
	.loc	1 92 20                         ; int8_utils_aot.py:92:20
	s_cbranch_scc0 .LBB0_641
.LBB0_578:                              ;   in Loop: Header=BB0_457 Depth=1
	.loc	1 0 20                          ; int8_utils_aot.py:0:20
	v_accvgpr_write_b32 a104, 0
	.loc	1 92 51                         ; int8_utils_aot.py:92:51
	s_cmp_ge_i32 s92, s19
	.loc	1 92 20                         ; int8_utils_aot.py:92:20
	s_cbranch_scc0 .LBB0_642
.LBB0_579:                              ;   in Loop: Header=BB0_457 Depth=1
	.loc	1 0 20                          ; int8_utils_aot.py:0:20
	v_accvgpr_write_b32 a105, 0
	.loc	1 92 51                         ; int8_utils_aot.py:92:51
	s_cmp_ge_i32 s93, s19
	.loc	1 92 20                         ; int8_utils_aot.py:92:20
	s_cbranch_scc0 .LBB0_643
.LBB0_580:                              ;   in Loop: Header=BB0_457 Depth=1
	.loc	1 0 20                          ; int8_utils_aot.py:0:20
	v_accvgpr_write_b32 a106, 0
	.loc	1 92 51                         ; int8_utils_aot.py:92:51
	s_cmp_ge_i32 s95, s19
	.loc	1 92 20                         ; int8_utils_aot.py:92:20
	s_cbranch_scc0 .LBB0_644
.LBB0_581:                              ;   in Loop: Header=BB0_457 Depth=1
	.loc	1 0 20                          ; int8_utils_aot.py:0:20
	v_accvgpr_write_b32 a107, 0
	.loc	1 92 51                         ; int8_utils_aot.py:92:51
	s_cmp_ge_i32 s97, s19
	.loc	1 92 20                         ; int8_utils_aot.py:92:20
	s_cbranch_scc0 .LBB0_645
.LBB0_582:                              ;   in Loop: Header=BB0_457 Depth=1
	.loc	1 0 20                          ; int8_utils_aot.py:0:20
	v_accvgpr_write_b32 a108, 0
	.loc	1 92 51                         ; int8_utils_aot.py:92:51
	s_cmp_ge_i32 s72, s19
	.loc	1 92 20                         ; int8_utils_aot.py:92:20
	s_cbranch_scc0 .LBB0_646
.LBB0_583:                              ;   in Loop: Header=BB0_457 Depth=1
	.loc	1 0 20                          ; int8_utils_aot.py:0:20
	v_accvgpr_write_b32 a109, 0
	.loc	1 92 51                         ; int8_utils_aot.py:92:51
	s_cmp_ge_i32 s7, s19
	.loc	1 92 20                         ; int8_utils_aot.py:92:20
	s_cbranch_scc0 .LBB0_647
.LBB0_584:                              ;   in Loop: Header=BB0_457 Depth=1
	.loc	1 0 20                          ; int8_utils_aot.py:0:20
	v_accvgpr_write_b32 a110, 0
	.loc	1 92 51                         ; int8_utils_aot.py:92:51
	s_cmp_ge_i32 s76, s19
	.loc	1 92 20                         ; int8_utils_aot.py:92:20
	s_cbranch_scc0 .LBB0_455
	s_branch .LBB0_648
.LBB0_585:                              ;   in Loop: Header=BB0_457 Depth=1
	.loc	1 0 20                          ; int8_utils_aot.py:0:20
	v_accvgpr_write_b32 a48, 0
	.loc	1 92 51                         ; int8_utils_aot.py:92:51
	s_cmp_ge_i32 s27, s19
	.loc	1 92 20                         ; int8_utils_aot.py:92:20
	s_cbranch_scc1 .LBB0_523
.LBB0_586:                              ;   in Loop: Header=BB0_457 Depth=1
	.loc	1 0 20                          ; int8_utils_aot.py:0:20
	v_accvgpr_read_b32 v0, a130
	v_accvgpr_read_b32 v1, a131
	.loc	1 101 18 is_stmt 1              ; int8_utils_aot.py:101:18
	v_lshl_add_u64 v[0:1], s[4:5], 0, v[0:1]
	.loc	1 92 20                         ; int8_utils_aot.py:92:20
	global_load_ubyte a49, v[0:1], off
	.loc	1 92 51 is_stmt 0               ; int8_utils_aot.py:92:51
	s_cmp_ge_i32 s28, s19
	.loc	1 92 20                         ; int8_utils_aot.py:92:20
	s_cbranch_scc1 .LBB0_524
.LBB0_587:                              ;   in Loop: Header=BB0_457 Depth=1
	.loc	1 0 20                          ; int8_utils_aot.py:0:20
	v_accvgpr_read_b32 v0, a132
	v_accvgpr_read_b32 v1, a133
	.loc	1 101 18 is_stmt 1              ; int8_utils_aot.py:101:18
	v_lshl_add_u64 v[0:1], s[4:5], 0, v[0:1]
	.loc	1 92 20                         ; int8_utils_aot.py:92:20
	global_load_ubyte a50, v[0:1], off
	.loc	1 92 51 is_stmt 0               ; int8_utils_aot.py:92:51
	s_cmp_ge_i32 s29, s19
	.loc	1 92 20                         ; int8_utils_aot.py:92:20
	s_cbranch_scc1 .LBB0_525
.LBB0_588:                              ;   in Loop: Header=BB0_457 Depth=1
	.loc	1 0 20                          ; int8_utils_aot.py:0:20
	v_accvgpr_read_b32 v0, a134
	v_accvgpr_read_b32 v1, a135
	.loc	1 101 18 is_stmt 1              ; int8_utils_aot.py:101:18
	v_lshl_add_u64 v[0:1], s[4:5], 0, v[0:1]
	.loc	1 92 20                         ; int8_utils_aot.py:92:20
	global_load_ubyte a51, v[0:1], off
	.loc	1 92 51 is_stmt 0               ; int8_utils_aot.py:92:51
	s_cmp_ge_i32 s30, s19
	.loc	1 92 20                         ; int8_utils_aot.py:92:20
	s_cbranch_scc1 .LBB0_526
.LBB0_589:                              ;   in Loop: Header=BB0_457 Depth=1
	.loc	1 0 20                          ; int8_utils_aot.py:0:20
	v_accvgpr_read_b32 v0, a136
	v_accvgpr_read_b32 v1, a137
	.loc	1 101 18 is_stmt 1              ; int8_utils_aot.py:101:18
	v_lshl_add_u64 v[0:1], s[4:5], 0, v[0:1]
	.loc	1 92 20                         ; int8_utils_aot.py:92:20
	global_load_ubyte a52, v[0:1], off
	.loc	1 92 51 is_stmt 0               ; int8_utils_aot.py:92:51
	s_cmp_ge_i32 s31, s19
	.loc	1 92 20                         ; int8_utils_aot.py:92:20
	s_cbranch_scc1 .LBB0_527
.LBB0_590:                              ;   in Loop: Header=BB0_457 Depth=1
	.loc	1 0 20                          ; int8_utils_aot.py:0:20
	v_accvgpr_read_b32 v0, a138
	v_accvgpr_read_b32 v1, a139
	.loc	1 101 18 is_stmt 1              ; int8_utils_aot.py:101:18
	v_lshl_add_u64 v[0:1], s[4:5], 0, v[0:1]
	.loc	1 92 20                         ; int8_utils_aot.py:92:20
	global_load_ubyte a53, v[0:1], off
	.loc	1 92 51 is_stmt 0               ; int8_utils_aot.py:92:51
	s_cmp_ge_i32 s34, s19
	.loc	1 92 20                         ; int8_utils_aot.py:92:20
	s_cbranch_scc1 .LBB0_528
.LBB0_591:                              ;   in Loop: Header=BB0_457 Depth=1
	.loc	1 0 20                          ; int8_utils_aot.py:0:20
	v_accvgpr_read_b32 v0, a140
	v_accvgpr_read_b32 v1, a141
	.loc	1 101 18 is_stmt 1              ; int8_utils_aot.py:101:18
	v_lshl_add_u64 v[0:1], s[4:5], 0, v[0:1]
	.loc	1 92 20                         ; int8_utils_aot.py:92:20
	global_load_ubyte a54, v[0:1], off
	.loc	1 92 51 is_stmt 0               ; int8_utils_aot.py:92:51
	s_cmp_ge_i32 s35, s19
	.loc	1 92 20                         ; int8_utils_aot.py:92:20
	s_cbranch_scc1 .LBB0_529
.LBB0_592:                              ;   in Loop: Header=BB0_457 Depth=1
	.loc	1 0 20                          ; int8_utils_aot.py:0:20
	v_accvgpr_read_b32 v0, a142
	v_accvgpr_read_b32 v1, a143
	.loc	1 101 18 is_stmt 1              ; int8_utils_aot.py:101:18
	v_lshl_add_u64 v[0:1], s[4:5], 0, v[0:1]
	.loc	1 92 20                         ; int8_utils_aot.py:92:20
	global_load_ubyte a55, v[0:1], off
	.loc	1 92 51 is_stmt 0               ; int8_utils_aot.py:92:51
	s_cmp_ge_i32 s36, s19
	.loc	1 92 20                         ; int8_utils_aot.py:92:20
	s_cbranch_scc1 .LBB0_530
.LBB0_593:                              ;   in Loop: Header=BB0_457 Depth=1
	.loc	1 0 20                          ; int8_utils_aot.py:0:20
	v_accvgpr_read_b32 v0, a144
	v_accvgpr_read_b32 v1, a145
	.loc	1 101 18 is_stmt 1              ; int8_utils_aot.py:101:18
	v_lshl_add_u64 v[0:1], s[4:5], 0, v[0:1]
	.loc	1 92 20                         ; int8_utils_aot.py:92:20
	global_load_ubyte a56, v[0:1], off
	.loc	1 92 51 is_stmt 0               ; int8_utils_aot.py:92:51
	s_cmp_ge_i32 s37, s19
	.loc	1 92 20                         ; int8_utils_aot.py:92:20
	s_cbranch_scc1 .LBB0_531
.LBB0_594:                              ;   in Loop: Header=BB0_457 Depth=1
	.loc	1 0 20                          ; int8_utils_aot.py:0:20
	v_accvgpr_read_b32 v0, a146
	v_accvgpr_read_b32 v1, a147
	.loc	1 101 18 is_stmt 1              ; int8_utils_aot.py:101:18
	v_lshl_add_u64 v[0:1], s[4:5], 0, v[0:1]
	.loc	1 92 20                         ; int8_utils_aot.py:92:20
	global_load_ubyte a57, v[0:1], off
	.loc	1 92 51 is_stmt 0               ; int8_utils_aot.py:92:51
	s_cmp_ge_i32 s38, s19
	.loc	1 92 20                         ; int8_utils_aot.py:92:20
	s_cbranch_scc1 .LBB0_532
.LBB0_595:                              ;   in Loop: Header=BB0_457 Depth=1
	.loc	1 0 20                          ; int8_utils_aot.py:0:20
	v_accvgpr_read_b32 v0, a148
	v_accvgpr_read_b32 v1, a149
	.loc	1 101 18 is_stmt 1              ; int8_utils_aot.py:101:18
	v_lshl_add_u64 v[0:1], s[4:5], 0, v[0:1]
	.loc	1 92 20                         ; int8_utils_aot.py:92:20
	global_load_ubyte a58, v[0:1], off
	.loc	1 92 51 is_stmt 0               ; int8_utils_aot.py:92:51
	s_cmp_ge_i32 s39, s19
	.loc	1 92 20                         ; int8_utils_aot.py:92:20
	s_cbranch_scc1 .LBB0_533
.LBB0_596:                              ;   in Loop: Header=BB0_457 Depth=1
	.loc	1 0 20                          ; int8_utils_aot.py:0:20
	v_accvgpr_read_b32 v0, a150
	v_accvgpr_read_b32 v1, a151
	.loc	1 101 18 is_stmt 1              ; int8_utils_aot.py:101:18
	v_lshl_add_u64 v[0:1], s[4:5], 0, v[0:1]
	.loc	1 92 20                         ; int8_utils_aot.py:92:20
	global_load_ubyte a59, v[0:1], off
	.loc	1 92 51 is_stmt 0               ; int8_utils_aot.py:92:51
	s_cmp_ge_i32 s40, s19
	.loc	1 92 20                         ; int8_utils_aot.py:92:20
	s_cbranch_scc1 .LBB0_534
.LBB0_597:                              ;   in Loop: Header=BB0_457 Depth=1
	.loc	1 0 20                          ; int8_utils_aot.py:0:20
	v_accvgpr_read_b32 v0, a152
	v_accvgpr_read_b32 v1, a153
	.loc	1 101 18 is_stmt 1              ; int8_utils_aot.py:101:18
	v_lshl_add_u64 v[0:1], s[4:5], 0, v[0:1]
	.loc	1 92 20                         ; int8_utils_aot.py:92:20
	global_load_ubyte a60, v[0:1], off
	.loc	1 92 51 is_stmt 0               ; int8_utils_aot.py:92:51
	s_cmp_ge_i32 s41, s19
	.loc	1 92 20                         ; int8_utils_aot.py:92:20
	s_cbranch_scc1 .LBB0_535
.LBB0_598:                              ;   in Loop: Header=BB0_457 Depth=1
	.loc	1 0 20                          ; int8_utils_aot.py:0:20
	v_accvgpr_read_b32 v0, a154
	v_accvgpr_read_b32 v1, a155
	.loc	1 101 18 is_stmt 1              ; int8_utils_aot.py:101:18
	v_lshl_add_u64 v[0:1], s[4:5], 0, v[0:1]
	.loc	1 92 20                         ; int8_utils_aot.py:92:20
	global_load_ubyte a61, v[0:1], off
	.loc	1 92 51 is_stmt 0               ; int8_utils_aot.py:92:51
	s_cmp_ge_i32 s42, s19
	.loc	1 92 20                         ; int8_utils_aot.py:92:20
	s_cbranch_scc1 .LBB0_536
.LBB0_599:                              ;   in Loop: Header=BB0_457 Depth=1
	.loc	1 0 20                          ; int8_utils_aot.py:0:20
	v_accvgpr_read_b32 v0, a156
	v_accvgpr_read_b32 v1, a157
	.loc	1 101 18 is_stmt 1              ; int8_utils_aot.py:101:18
	v_lshl_add_u64 v[0:1], s[4:5], 0, v[0:1]
	.loc	1 92 20                         ; int8_utils_aot.py:92:20
	global_load_ubyte a62, v[0:1], off
	.loc	1 92 51 is_stmt 0               ; int8_utils_aot.py:92:51
	s_cmp_ge_i32 s43, s19
	.loc	1 92 20                         ; int8_utils_aot.py:92:20
	s_cbranch_scc1 .LBB0_537
.LBB0_600:                              ;   in Loop: Header=BB0_457 Depth=1
	.loc	1 0 20                          ; int8_utils_aot.py:0:20
	v_accvgpr_read_b32 v0, a160
	v_accvgpr_read_b32 v1, a161
	.loc	1 101 18 is_stmt 1              ; int8_utils_aot.py:101:18
	v_lshl_add_u64 v[0:1], s[4:5], 0, v[0:1]
	.loc	1 92 20                         ; int8_utils_aot.py:92:20
	global_load_ubyte a63, v[0:1], off
	.loc	1 92 51 is_stmt 0               ; int8_utils_aot.py:92:51
	s_cmp_ge_i32 s44, s19
	.loc	1 92 20                         ; int8_utils_aot.py:92:20
	s_cbranch_scc1 .LBB0_538
.LBB0_601:                              ;   in Loop: Header=BB0_457 Depth=1
	.loc	1 0 20                          ; int8_utils_aot.py:0:20
	v_accvgpr_read_b32 v0, a162
	v_accvgpr_read_b32 v1, a163
	.loc	1 101 18 is_stmt 1              ; int8_utils_aot.py:101:18
	v_lshl_add_u64 v[0:1], s[4:5], 0, v[0:1]
	.loc	1 92 20                         ; int8_utils_aot.py:92:20
	global_load_ubyte a64, v[0:1], off
	.loc	1 92 51 is_stmt 0               ; int8_utils_aot.py:92:51
	s_cmp_ge_i32 s45, s19
	.loc	1 92 20                         ; int8_utils_aot.py:92:20
	s_cbranch_scc1 .LBB0_539
.LBB0_602:                              ;   in Loop: Header=BB0_457 Depth=1
	.loc	1 0 20                          ; int8_utils_aot.py:0:20
	v_accvgpr_read_b32 v0, a164
	v_accvgpr_read_b32 v1, a165
	.loc	1 101 18 is_stmt 1              ; int8_utils_aot.py:101:18
	v_lshl_add_u64 v[0:1], s[4:5], 0, v[0:1]
	.loc	1 92 20                         ; int8_utils_aot.py:92:20
	global_load_ubyte a65, v[0:1], off
	.loc	1 92 51 is_stmt 0               ; int8_utils_aot.py:92:51
	s_cmp_ge_i32 s46, s19
	.loc	1 92 20                         ; int8_utils_aot.py:92:20
	s_cbranch_scc1 .LBB0_540
.LBB0_603:                              ;   in Loop: Header=BB0_457 Depth=1
	.loc	1 0 20                          ; int8_utils_aot.py:0:20
	v_accvgpr_read_b32 v0, a166
	v_accvgpr_read_b32 v1, a167
	.loc	1 101 18 is_stmt 1              ; int8_utils_aot.py:101:18
	v_lshl_add_u64 v[0:1], s[4:5], 0, v[0:1]
	.loc	1 92 20                         ; int8_utils_aot.py:92:20
	global_load_ubyte a66, v[0:1], off
	.loc	1 92 51 is_stmt 0               ; int8_utils_aot.py:92:51
	s_cmp_ge_i32 s47, s19
	.loc	1 92 20                         ; int8_utils_aot.py:92:20
	s_cbranch_scc1 .LBB0_541
.LBB0_604:                              ;   in Loop: Header=BB0_457 Depth=1
	.loc	1 0 20                          ; int8_utils_aot.py:0:20
	v_accvgpr_read_b32 v0, a168
	v_accvgpr_read_b32 v1, a169
	.loc	1 101 18 is_stmt 1              ; int8_utils_aot.py:101:18
	v_lshl_add_u64 v[0:1], s[4:5], 0, v[0:1]
	.loc	1 92 20                         ; int8_utils_aot.py:92:20
	global_load_ubyte a67, v[0:1], off
	.loc	1 92 51 is_stmt 0               ; int8_utils_aot.py:92:51
	s_cmp_ge_i32 s48, s19
	.loc	1 92 20                         ; int8_utils_aot.py:92:20
	s_cbranch_scc1 .LBB0_542
.LBB0_605:                              ;   in Loop: Header=BB0_457 Depth=1
	.loc	1 0 20                          ; int8_utils_aot.py:0:20
	v_accvgpr_read_b32 v0, a170
	v_accvgpr_read_b32 v1, a171
	.loc	1 101 18 is_stmt 1              ; int8_utils_aot.py:101:18
	v_lshl_add_u64 v[0:1], s[4:5], 0, v[0:1]
	.loc	1 92 20                         ; int8_utils_aot.py:92:20
	global_load_ubyte a68, v[0:1], off
	.loc	1 92 51 is_stmt 0               ; int8_utils_aot.py:92:51
	s_cmp_ge_i32 s49, s19
	.loc	1 92 20                         ; int8_utils_aot.py:92:20
	s_cbranch_scc1 .LBB0_543
.LBB0_606:                              ;   in Loop: Header=BB0_457 Depth=1
	.loc	1 0 20                          ; int8_utils_aot.py:0:20
	v_accvgpr_read_b32 v0, a172
	v_accvgpr_read_b32 v1, a173
	.loc	1 101 18 is_stmt 1              ; int8_utils_aot.py:101:18
	v_lshl_add_u64 v[0:1], s[4:5], 0, v[0:1]
	.loc	1 92 20                         ; int8_utils_aot.py:92:20
	global_load_ubyte a69, v[0:1], off
	.loc	1 92 51 is_stmt 0               ; int8_utils_aot.py:92:51
	s_cmp_ge_i32 s50, s19
	.loc	1 92 20                         ; int8_utils_aot.py:92:20
	s_cbranch_scc1 .LBB0_544
.LBB0_607:                              ;   in Loop: Header=BB0_457 Depth=1
	.loc	1 0 20                          ; int8_utils_aot.py:0:20
	v_accvgpr_read_b32 v0, a174
	v_accvgpr_read_b32 v1, a175
	.loc	1 101 18 is_stmt 1              ; int8_utils_aot.py:101:18
	v_lshl_add_u64 v[0:1], s[4:5], 0, v[0:1]
	.loc	1 92 20                         ; int8_utils_aot.py:92:20
	global_load_ubyte a70, v[0:1], off
	.loc	1 92 51 is_stmt 0               ; int8_utils_aot.py:92:51
	s_cmp_ge_i32 s51, s19
	.loc	1 92 20                         ; int8_utils_aot.py:92:20
	s_cbranch_scc1 .LBB0_545
.LBB0_608:                              ;   in Loop: Header=BB0_457 Depth=1
	.loc	1 0 20                          ; int8_utils_aot.py:0:20
	v_accvgpr_read_b32 v0, a176
	v_accvgpr_read_b32 v1, a177
	.loc	1 101 18 is_stmt 1              ; int8_utils_aot.py:101:18
	v_lshl_add_u64 v[0:1], s[4:5], 0, v[0:1]
	.loc	1 92 20                         ; int8_utils_aot.py:92:20
	global_load_ubyte a71, v[0:1], off
	.loc	1 92 51 is_stmt 0               ; int8_utils_aot.py:92:51
	s_cmp_ge_i32 s52, s19
	.loc	1 92 20                         ; int8_utils_aot.py:92:20
	s_cbranch_scc1 .LBB0_546
.LBB0_609:                              ;   in Loop: Header=BB0_457 Depth=1
	.loc	1 0 20                          ; int8_utils_aot.py:0:20
	v_accvgpr_read_b32 v0, a178
	v_accvgpr_read_b32 v1, a179
	.loc	1 101 18 is_stmt 1              ; int8_utils_aot.py:101:18
	v_lshl_add_u64 v[0:1], s[4:5], 0, v[0:1]
	.loc	1 92 20                         ; int8_utils_aot.py:92:20
	global_load_ubyte a72, v[0:1], off
	.loc	1 92 51 is_stmt 0               ; int8_utils_aot.py:92:51
	s_cmp_ge_i32 s53, s19
	.loc	1 92 20                         ; int8_utils_aot.py:92:20
	s_cbranch_scc1 .LBB0_547
.LBB0_610:                              ;   in Loop: Header=BB0_457 Depth=1
	.loc	1 0 20                          ; int8_utils_aot.py:0:20
	v_accvgpr_read_b32 v0, a180
	v_accvgpr_read_b32 v1, a181
	.loc	1 101 18 is_stmt 1              ; int8_utils_aot.py:101:18
	v_lshl_add_u64 v[0:1], s[4:5], 0, v[0:1]
	.loc	1 92 20                         ; int8_utils_aot.py:92:20
	global_load_ubyte a73, v[0:1], off
	.loc	1 92 51 is_stmt 0               ; int8_utils_aot.py:92:51
	s_cmp_ge_i32 s54, s19
	.loc	1 92 20                         ; int8_utils_aot.py:92:20
	s_cbranch_scc1 .LBB0_548
.LBB0_611:                              ;   in Loop: Header=BB0_457 Depth=1
	.loc	1 0 20                          ; int8_utils_aot.py:0:20
	v_accvgpr_read_b32 v0, a182
	v_accvgpr_read_b32 v1, a183
	.loc	1 101 18 is_stmt 1              ; int8_utils_aot.py:101:18
	v_lshl_add_u64 v[0:1], s[4:5], 0, v[0:1]
	.loc	1 92 20                         ; int8_utils_aot.py:92:20
	global_load_ubyte a74, v[0:1], off
	.loc	1 92 51 is_stmt 0               ; int8_utils_aot.py:92:51
	s_cmp_ge_i32 s55, s19
	.loc	1 92 20                         ; int8_utils_aot.py:92:20
	s_cbranch_scc1 .LBB0_549
.LBB0_612:                              ;   in Loop: Header=BB0_457 Depth=1
	.loc	1 0 20                          ; int8_utils_aot.py:0:20
	v_accvgpr_read_b32 v0, a184
	v_accvgpr_read_b32 v1, a185
	.loc	1 101 18 is_stmt 1              ; int8_utils_aot.py:101:18
	v_lshl_add_u64 v[0:1], s[4:5], 0, v[0:1]
	.loc	1 92 20                         ; int8_utils_aot.py:92:20
	global_load_ubyte a75, v[0:1], off
	.loc	1 92 51 is_stmt 0               ; int8_utils_aot.py:92:51
	s_cmp_ge_i32 s56, s19
	.loc	1 92 20                         ; int8_utils_aot.py:92:20
	s_cbranch_scc1 .LBB0_550
.LBB0_613:                              ;   in Loop: Header=BB0_457 Depth=1
	.loc	1 0 20                          ; int8_utils_aot.py:0:20
	v_accvgpr_read_b32 v0, a186
	v_accvgpr_read_b32 v1, a187
	.loc	1 101 18 is_stmt 1              ; int8_utils_aot.py:101:18
	v_lshl_add_u64 v[0:1], s[4:5], 0, v[0:1]
	.loc	1 92 20                         ; int8_utils_aot.py:92:20
	global_load_ubyte a76, v[0:1], off
	.loc	1 92 51 is_stmt 0               ; int8_utils_aot.py:92:51
	s_cmp_ge_i32 s57, s19
	.loc	1 92 20                         ; int8_utils_aot.py:92:20
	s_cbranch_scc1 .LBB0_551
.LBB0_614:                              ;   in Loop: Header=BB0_457 Depth=1
	.loc	1 0 20                          ; int8_utils_aot.py:0:20
	v_accvgpr_read_b32 v0, a188
	v_accvgpr_read_b32 v1, a189
	.loc	1 101 18 is_stmt 1              ; int8_utils_aot.py:101:18
	v_lshl_add_u64 v[0:1], s[4:5], 0, v[0:1]
	.loc	1 92 20                         ; int8_utils_aot.py:92:20
	global_load_ubyte a77, v[0:1], off
	.loc	1 92 51 is_stmt 0               ; int8_utils_aot.py:92:51
	s_cmp_ge_i32 s58, s19
	.loc	1 92 20                         ; int8_utils_aot.py:92:20
	s_cbranch_scc1 .LBB0_552
.LBB0_615:                              ;   in Loop: Header=BB0_457 Depth=1
	.loc	1 0 20                          ; int8_utils_aot.py:0:20
	v_accvgpr_read_b32 v0, a190
	v_accvgpr_read_b32 v1, a191
	.loc	1 101 18 is_stmt 1              ; int8_utils_aot.py:101:18
	v_lshl_add_u64 v[0:1], s[4:5], 0, v[0:1]
	.loc	1 92 20                         ; int8_utils_aot.py:92:20
	global_load_ubyte a78, v[0:1], off
	.loc	1 92 51 is_stmt 0               ; int8_utils_aot.py:92:51
	s_cmp_ge_i32 s59, s19
	.loc	1 92 20                         ; int8_utils_aot.py:92:20
	s_cbranch_scc1 .LBB0_553
.LBB0_616:                              ;   in Loop: Header=BB0_457 Depth=1
	.loc	1 0 20                          ; int8_utils_aot.py:0:20
	v_accvgpr_read_b32 v0, a192
	v_accvgpr_read_b32 v1, a193
	.loc	1 101 18 is_stmt 1              ; int8_utils_aot.py:101:18
	v_lshl_add_u64 v[0:1], s[4:5], 0, v[0:1]
	.loc	1 92 20                         ; int8_utils_aot.py:92:20
	global_load_ubyte a79, v[0:1], off
	.loc	1 92 51 is_stmt 0               ; int8_utils_aot.py:92:51
	s_cmp_ge_i32 s24, s19
	.loc	1 92 20                         ; int8_utils_aot.py:92:20
	s_cbranch_scc1 .LBB0_554
.LBB0_617:                              ;   in Loop: Header=BB0_457 Depth=1
	.loc	1 0 20                          ; int8_utils_aot.py:0:20
	v_accvgpr_read_b32 v0, a194
	v_accvgpr_read_b32 v1, a195
	.loc	1 101 18 is_stmt 1              ; int8_utils_aot.py:101:18
	v_lshl_add_u64 v[0:1], s[4:5], 0, v[0:1]
	.loc	1 92 20                         ; int8_utils_aot.py:92:20
	global_load_ubyte a80, v[0:1], off
	.loc	1 92 51 is_stmt 0               ; int8_utils_aot.py:92:51
	s_cmp_ge_i32 s25, s19
	.loc	1 92 20                         ; int8_utils_aot.py:92:20
	s_cbranch_scc1 .LBB0_555
.LBB0_618:                              ;   in Loop: Header=BB0_457 Depth=1
	.loc	1 0 20                          ; int8_utils_aot.py:0:20
	v_accvgpr_read_b32 v0, a196
	v_accvgpr_read_b32 v1, a197
	.loc	1 101 18 is_stmt 1              ; int8_utils_aot.py:101:18
	v_lshl_add_u64 v[0:1], s[4:5], 0, v[0:1]
	.loc	1 92 20                         ; int8_utils_aot.py:92:20
	global_load_ubyte a81, v[0:1], off
	.loc	1 92 51 is_stmt 0               ; int8_utils_aot.py:92:51
	s_cmp_ge_i32 s60, s19
	.loc	1 92 20                         ; int8_utils_aot.py:92:20
	s_cbranch_scc1 .LBB0_556
.LBB0_619:                              ;   in Loop: Header=BB0_457 Depth=1
	.loc	1 0 20                          ; int8_utils_aot.py:0:20
	v_accvgpr_read_b32 v0, a198
	v_accvgpr_read_b32 v1, a199
	.loc	1 101 18 is_stmt 1              ; int8_utils_aot.py:101:18
	v_lshl_add_u64 v[0:1], s[4:5], 0, v[0:1]
	.loc	1 92 20                         ; int8_utils_aot.py:92:20
	global_load_ubyte a82, v[0:1], off
	.loc	1 92 51 is_stmt 0               ; int8_utils_aot.py:92:51
	s_cmp_ge_i32 s61, s19
	.loc	1 92 20                         ; int8_utils_aot.py:92:20
	s_cbranch_scc1 .LBB0_557
.LBB0_620:                              ;   in Loop: Header=BB0_457 Depth=1
	.loc	1 0 20                          ; int8_utils_aot.py:0:20
	v_accvgpr_read_b32 v0, a200
	v_accvgpr_read_b32 v1, a201
	.loc	1 101 18 is_stmt 1              ; int8_utils_aot.py:101:18
	v_lshl_add_u64 v[0:1], s[4:5], 0, v[0:1]
	.loc	1 92 20                         ; int8_utils_aot.py:92:20
	global_load_ubyte a83, v[0:1], off
	.loc	1 92 51 is_stmt 0               ; int8_utils_aot.py:92:51
	s_cmp_ge_i32 s62, s19
	.loc	1 92 20                         ; int8_utils_aot.py:92:20
	s_cbranch_scc1 .LBB0_558
.LBB0_621:                              ;   in Loop: Header=BB0_457 Depth=1
	.loc	1 0 20                          ; int8_utils_aot.py:0:20
	v_accvgpr_read_b32 v0, a202
	v_accvgpr_read_b32 v1, a203
	.loc	1 101 18 is_stmt 1              ; int8_utils_aot.py:101:18
	v_lshl_add_u64 v[0:1], s[4:5], 0, v[0:1]
	.loc	1 92 20                         ; int8_utils_aot.py:92:20
	global_load_ubyte a84, v[0:1], off
	.loc	1 92 51 is_stmt 0               ; int8_utils_aot.py:92:51
	s_cmp_ge_i32 s63, s19
	.loc	1 92 20                         ; int8_utils_aot.py:92:20
	s_cbranch_scc1 .LBB0_559
.LBB0_622:                              ;   in Loop: Header=BB0_457 Depth=1
	.loc	1 0 20                          ; int8_utils_aot.py:0:20
	v_accvgpr_read_b32 v0, a204
	v_accvgpr_read_b32 v1, a205
	.loc	1 101 18 is_stmt 1              ; int8_utils_aot.py:101:18
	v_lshl_add_u64 v[0:1], s[4:5], 0, v[0:1]
	.loc	1 92 20                         ; int8_utils_aot.py:92:20
	global_load_ubyte a85, v[0:1], off
	.loc	1 92 51 is_stmt 0               ; int8_utils_aot.py:92:51
	s_cmp_ge_i32 s64, s19
	.loc	1 92 20                         ; int8_utils_aot.py:92:20
	s_cbranch_scc1 .LBB0_560
.LBB0_623:                              ;   in Loop: Header=BB0_457 Depth=1
	.loc	1 0 20                          ; int8_utils_aot.py:0:20
	v_accvgpr_read_b32 v0, a206
	v_accvgpr_read_b32 v1, a207
	.loc	1 101 18 is_stmt 1              ; int8_utils_aot.py:101:18
	v_lshl_add_u64 v[0:1], s[4:5], 0, v[0:1]
	.loc	1 92 20                         ; int8_utils_aot.py:92:20
	global_load_ubyte a86, v[0:1], off
	.loc	1 92 51 is_stmt 0               ; int8_utils_aot.py:92:51
	s_cmp_ge_i32 s65, s19
	.loc	1 92 20                         ; int8_utils_aot.py:92:20
	s_cbranch_scc1 .LBB0_561
.LBB0_624:                              ;   in Loop: Header=BB0_457 Depth=1
	.loc	1 0 20                          ; int8_utils_aot.py:0:20
	v_accvgpr_read_b32 v0, a208
	v_accvgpr_read_b32 v1, a209
	.loc	1 101 18 is_stmt 1              ; int8_utils_aot.py:101:18
	v_lshl_add_u64 v[0:1], s[4:5], 0, v[0:1]
	.loc	1 92 20                         ; int8_utils_aot.py:92:20
	global_load_ubyte a87, v[0:1], off
	.loc	1 92 51 is_stmt 0               ; int8_utils_aot.py:92:51
	s_cmp_ge_i32 s66, s19
	.loc	1 92 20                         ; int8_utils_aot.py:92:20
	s_cbranch_scc1 .LBB0_562
.LBB0_625:                              ;   in Loop: Header=BB0_457 Depth=1
	.loc	1 101 18 is_stmt 1              ; int8_utils_aot.py:101:18
	v_lshl_add_u64 v[0:1], s[4:5], 0, v[114:115]
	.loc	1 92 20                         ; int8_utils_aot.py:92:20
	global_load_ubyte a88, v[0:1], off
	.loc	1 92 51 is_stmt 0               ; int8_utils_aot.py:92:51
	s_cmp_ge_i32 s67, s19
	.loc	1 92 20                         ; int8_utils_aot.py:92:20
	s_cbranch_scc1 .LBB0_563
.LBB0_626:                              ;   in Loop: Header=BB0_457 Depth=1
	.loc	1 101 18 is_stmt 1              ; int8_utils_aot.py:101:18
	v_lshl_add_u64 v[0:1], s[4:5], 0, v[116:117]
	.loc	1 92 20                         ; int8_utils_aot.py:92:20
	global_load_ubyte a89, v[0:1], off
	.loc	1 92 51 is_stmt 0               ; int8_utils_aot.py:92:51
	s_cmp_ge_i32 s68, s19
	.loc	1 92 20                         ; int8_utils_aot.py:92:20
	s_cbranch_scc1 .LBB0_564
.LBB0_627:                              ;   in Loop: Header=BB0_457 Depth=1
	.loc	1 101 18 is_stmt 1              ; int8_utils_aot.py:101:18
	v_lshl_add_u64 v[0:1], s[4:5], 0, v[118:119]
	.loc	1 92 20                         ; int8_utils_aot.py:92:20
	global_load_ubyte a90, v[0:1], off
	.loc	1 92 51 is_stmt 0               ; int8_utils_aot.py:92:51
	s_cmp_ge_i32 s69, s19
	.loc	1 92 20                         ; int8_utils_aot.py:92:20
	s_cbranch_scc1 .LBB0_565
.LBB0_628:                              ;   in Loop: Header=BB0_457 Depth=1
	.loc	1 101 18 is_stmt 1              ; int8_utils_aot.py:101:18
	v_lshl_add_u64 v[0:1], s[4:5], 0, v[120:121]
	.loc	1 92 20                         ; int8_utils_aot.py:92:20
	global_load_ubyte a91, v[0:1], off
	.loc	1 92 51 is_stmt 0               ; int8_utils_aot.py:92:51
	s_cmp_ge_i32 s70, s19
	.loc	1 92 20                         ; int8_utils_aot.py:92:20
	s_cbranch_scc1 .LBB0_566
.LBB0_629:                              ;   in Loop: Header=BB0_457 Depth=1
	.loc	1 101 18 is_stmt 1              ; int8_utils_aot.py:101:18
	v_lshl_add_u64 v[0:1], s[4:5], 0, v[122:123]
	.loc	1 92 20                         ; int8_utils_aot.py:92:20
	global_load_ubyte a92, v[0:1], off
	.loc	1 92 51 is_stmt 0               ; int8_utils_aot.py:92:51
	s_cmp_ge_i32 s71, s19
	.loc	1 92 20                         ; int8_utils_aot.py:92:20
	s_cbranch_scc1 .LBB0_567
.LBB0_630:                              ;   in Loop: Header=BB0_457 Depth=1
	.loc	1 101 18 is_stmt 1              ; int8_utils_aot.py:101:18
	v_lshl_add_u64 v[0:1], s[4:5], 0, v[124:125]
	.loc	1 92 20                         ; int8_utils_aot.py:92:20
	global_load_ubyte a93, v[0:1], off
	.loc	1 92 51 is_stmt 0               ; int8_utils_aot.py:92:51
	s_cmp_ge_i32 s73, s19
	.loc	1 92 20                         ; int8_utils_aot.py:92:20
	s_cbranch_scc1 .LBB0_568
.LBB0_631:                              ;   in Loop: Header=BB0_457 Depth=1
	.loc	1 101 18 is_stmt 1              ; int8_utils_aot.py:101:18
	v_lshl_add_u64 v[0:1], s[4:5], 0, v[126:127]
	.loc	1 92 20                         ; int8_utils_aot.py:92:20
	global_load_ubyte a94, v[0:1], off
	.loc	1 92 51 is_stmt 0               ; int8_utils_aot.py:92:51
	s_cmp_ge_i32 s75, s19
	.loc	1 92 20                         ; int8_utils_aot.py:92:20
	s_cbranch_scc1 .LBB0_569
.LBB0_632:                              ;   in Loop: Header=BB0_457 Depth=1
	.loc	1 101 18 is_stmt 1              ; int8_utils_aot.py:101:18
	v_lshl_add_u64 v[0:1], s[4:5], 0, v[128:129]
	.loc	1 92 20                         ; int8_utils_aot.py:92:20
	global_load_ubyte a95, v[0:1], off
	.loc	1 92 51 is_stmt 0               ; int8_utils_aot.py:92:51
	s_cmp_ge_i32 s77, s19
	.loc	1 92 20                         ; int8_utils_aot.py:92:20
	s_cbranch_scc1 .LBB0_570
.LBB0_633:                              ;   in Loop: Header=BB0_457 Depth=1
	.loc	1 101 18 is_stmt 1              ; int8_utils_aot.py:101:18
	v_lshl_add_u64 v[0:1], s[4:5], 0, v[130:131]
	.loc	1 92 20                         ; int8_utils_aot.py:92:20
	global_load_ubyte a96, v[0:1], off
	.loc	1 92 51 is_stmt 0               ; int8_utils_aot.py:92:51
	s_cmp_ge_i32 s79, s19
	.loc	1 92 20                         ; int8_utils_aot.py:92:20
	s_cbranch_scc1 .LBB0_571
.LBB0_634:                              ;   in Loop: Header=BB0_457 Depth=1
	.loc	1 101 18 is_stmt 1              ; int8_utils_aot.py:101:18
	v_lshl_add_u64 v[0:1], s[4:5], 0, v[132:133]
	.loc	1 92 20                         ; int8_utils_aot.py:92:20
	global_load_ubyte a97, v[0:1], off
	.loc	1 92 51 is_stmt 0               ; int8_utils_aot.py:92:51
	s_cmp_ge_i32 s80, s19
	.loc	1 92 20                         ; int8_utils_aot.py:92:20
	s_cbranch_scc1 .LBB0_572
.LBB0_635:                              ;   in Loop: Header=BB0_457 Depth=1
	.loc	1 101 18 is_stmt 1              ; int8_utils_aot.py:101:18
	v_lshl_add_u64 v[0:1], s[4:5], 0, v[134:135]
	.loc	1 92 20                         ; int8_utils_aot.py:92:20
	global_load_ubyte a98, v[0:1], off
	.loc	1 92 51 is_stmt 0               ; int8_utils_aot.py:92:51
	s_cmp_ge_i32 s82, s19
	.loc	1 92 20                         ; int8_utils_aot.py:92:20
	s_cbranch_scc1 .LBB0_573
.LBB0_636:                              ;   in Loop: Header=BB0_457 Depth=1
	.loc	1 101 18 is_stmt 1              ; int8_utils_aot.py:101:18
	v_lshl_add_u64 v[0:1], s[4:5], 0, v[136:137]
	.loc	1 92 20                         ; int8_utils_aot.py:92:20
	global_load_ubyte a99, v[0:1], off
	.loc	1 92 51 is_stmt 0               ; int8_utils_aot.py:92:51
	s_cmp_ge_i32 s83, s19
	.loc	1 92 20                         ; int8_utils_aot.py:92:20
	s_cbranch_scc1 .LBB0_574
.LBB0_637:                              ;   in Loop: Header=BB0_457 Depth=1
	.loc	1 101 18 is_stmt 1              ; int8_utils_aot.py:101:18
	v_lshl_add_u64 v[0:1], s[4:5], 0, v[138:139]
	.loc	1 92 20                         ; int8_utils_aot.py:92:20
	global_load_ubyte a100, v[0:1], off
	.loc	1 92 51 is_stmt 0               ; int8_utils_aot.py:92:51
	s_cmp_ge_i32 s85, s19
	.loc	1 92 20                         ; int8_utils_aot.py:92:20
	s_cbranch_scc1 .LBB0_575
.LBB0_638:                              ;   in Loop: Header=BB0_457 Depth=1
	.loc	1 101 18 is_stmt 1              ; int8_utils_aot.py:101:18
	v_lshl_add_u64 v[0:1], s[4:5], 0, v[140:141]
	.loc	1 92 20                         ; int8_utils_aot.py:92:20
	global_load_ubyte a101, v[0:1], off
	.loc	1 92 51 is_stmt 0               ; int8_utils_aot.py:92:51
	s_cmp_ge_i32 s87, s19
	.loc	1 92 20                         ; int8_utils_aot.py:92:20
	s_cbranch_scc1 .LBB0_576
.LBB0_639:                              ;   in Loop: Header=BB0_457 Depth=1
	.loc	1 101 18 is_stmt 1              ; int8_utils_aot.py:101:18
	v_lshl_add_u64 v[0:1], s[4:5], 0, v[142:143]
	.loc	1 92 20                         ; int8_utils_aot.py:92:20
	global_load_ubyte a102, v[0:1], off
	.loc	1 92 51 is_stmt 0               ; int8_utils_aot.py:92:51
	s_cmp_ge_i32 s88, s19
	.loc	1 92 20                         ; int8_utils_aot.py:92:20
	s_cbranch_scc1 .LBB0_577
.LBB0_640:                              ;   in Loop: Header=BB0_457 Depth=1
	.loc	1 101 18 is_stmt 1              ; int8_utils_aot.py:101:18
	v_lshl_add_u64 v[0:1], s[4:5], 0, v[144:145]
	.loc	1 92 20                         ; int8_utils_aot.py:92:20
	global_load_ubyte a103, v[0:1], off
	.loc	1 92 51 is_stmt 0               ; int8_utils_aot.py:92:51
	s_cmp_ge_i32 s90, s19
	.loc	1 92 20                         ; int8_utils_aot.py:92:20
	s_cbranch_scc1 .LBB0_578
.LBB0_641:                              ;   in Loop: Header=BB0_457 Depth=1
	.loc	1 101 18 is_stmt 1              ; int8_utils_aot.py:101:18
	v_lshl_add_u64 v[0:1], s[4:5], 0, v[146:147]
	.loc	1 92 20                         ; int8_utils_aot.py:92:20
	global_load_ubyte a104, v[0:1], off
	.loc	1 92 51 is_stmt 0               ; int8_utils_aot.py:92:51
	s_cmp_ge_i32 s92, s19
	.loc	1 92 20                         ; int8_utils_aot.py:92:20
	s_cbranch_scc1 .LBB0_579
.LBB0_642:                              ;   in Loop: Header=BB0_457 Depth=1
	.loc	1 101 18 is_stmt 1              ; int8_utils_aot.py:101:18
	v_lshl_add_u64 v[0:1], s[4:5], 0, v[148:149]
	.loc	1 92 20                         ; int8_utils_aot.py:92:20
	global_load_ubyte a105, v[0:1], off
	.loc	1 92 51 is_stmt 0               ; int8_utils_aot.py:92:51
	s_cmp_ge_i32 s93, s19
	.loc	1 92 20                         ; int8_utils_aot.py:92:20
	s_cbranch_scc1 .LBB0_580
.LBB0_643:                              ;   in Loop: Header=BB0_457 Depth=1
	.loc	1 101 18 is_stmt 1              ; int8_utils_aot.py:101:18
	v_lshl_add_u64 v[0:1], s[4:5], 0, v[150:151]
	.loc	1 92 20                         ; int8_utils_aot.py:92:20
	global_load_ubyte a106, v[0:1], off
	.loc	1 92 51 is_stmt 0               ; int8_utils_aot.py:92:51
	s_cmp_ge_i32 s95, s19
	.loc	1 92 20                         ; int8_utils_aot.py:92:20
	s_cbranch_scc1 .LBB0_581
.LBB0_644:                              ;   in Loop: Header=BB0_457 Depth=1
	.loc	1 101 18 is_stmt 1              ; int8_utils_aot.py:101:18
	v_lshl_add_u64 v[0:1], s[4:5], 0, v[152:153]
	.loc	1 92 20                         ; int8_utils_aot.py:92:20
	global_load_ubyte a107, v[0:1], off
	.loc	1 92 51 is_stmt 0               ; int8_utils_aot.py:92:51
	s_cmp_ge_i32 s97, s19
	.loc	1 92 20                         ; int8_utils_aot.py:92:20
	s_cbranch_scc1 .LBB0_582
.LBB0_645:                              ;   in Loop: Header=BB0_457 Depth=1
	.loc	1 101 18 is_stmt 1              ; int8_utils_aot.py:101:18
	v_lshl_add_u64 v[0:1], s[4:5], 0, v[154:155]
	.loc	1 92 20                         ; int8_utils_aot.py:92:20
	global_load_ubyte a108, v[0:1], off
	.loc	1 92 51 is_stmt 0               ; int8_utils_aot.py:92:51
	s_cmp_ge_i32 s72, s19
	.loc	1 92 20                         ; int8_utils_aot.py:92:20
	s_cbranch_scc1 .LBB0_583
.LBB0_646:                              ;   in Loop: Header=BB0_457 Depth=1
	.loc	1 101 18 is_stmt 1              ; int8_utils_aot.py:101:18
	v_lshl_add_u64 v[0:1], s[4:5], 0, v[156:157]
	.loc	1 92 20                         ; int8_utils_aot.py:92:20
	global_load_ubyte a109, v[0:1], off
	.loc	1 92 51 is_stmt 0               ; int8_utils_aot.py:92:51
	s_cmp_ge_i32 s7, s19
	.loc	1 92 20                         ; int8_utils_aot.py:92:20
	s_cbranch_scc1 .LBB0_584
.LBB0_647:                              ;   in Loop: Header=BB0_457 Depth=1
	.loc	1 101 18 is_stmt 1              ; int8_utils_aot.py:101:18
	v_lshl_add_u64 v[0:1], s[4:5], 0, v[158:159]
	.loc	1 92 20                         ; int8_utils_aot.py:92:20
	global_load_ubyte a110, v[0:1], off
	.loc	1 92 51 is_stmt 0               ; int8_utils_aot.py:92:51
	s_cmp_ge_i32 s76, s19
	.loc	1 92 20                         ; int8_utils_aot.py:92:20
	s_cbranch_scc0 .LBB0_455
.LBB0_648:                              ;   in Loop: Header=BB0_457 Depth=1
	.loc	1 0 20                          ; int8_utils_aot.py:0:20
	v_accvgpr_write_b32 a111, 0
	.loc	1 92 20                         ; int8_utils_aot.py:92:20
	s_branch .LBB0_456
.LBB0_649:
	.loc	1 0 20                          ; int8_utils_aot.py:0:20
	s_movk_i32 s78, 0x80
.LBB0_650:                              ; %Flow
	v_accvgpr_read_b32 v78, a159
	v_accvgpr_read_b32 v79, a210
	;; [unrolled: 1-line block ×6, first 2 shown]
.LBB0_651:                              ; %Flow1300
	s_load_dwordx2 s[38:39], s[0:1], 0x4c
	.loc	1 95 29 is_stmt 1               ; int8_utils_aot.py:95:29
	s_waitcnt lgkmcnt(0)
	s_abs_i32 s0, s86
	v_cvt_f32_u32_e32 v17, s0
	.loc	1 91 20                         ; int8_utils_aot.py:91:20
	v_add_u32_e32 v4, 0, v78
	v_add_u32_e32 v8, 0, v79
	;; [unrolled: 1-line block ×3, first 2 shown]
	.loc	1 95 29                         ; int8_utils_aot.py:95:29
	v_rcp_iflag_f32_e32 v17, v17
	.loc	1 91 20                         ; int8_utils_aot.py:91:20
	v_add_u32_e32 v16, 0, v81
	s_waitcnt lgkmcnt(0)
	s_barrier
	ds_read_b128 v[0:3], v4 offset:16384
	ds_read_b128 v[54:57], v4 offset:20480
	;; [unrolled: 1-line block ×8, first 2 shown]
	.loc	1 92 20                         ; int8_utils_aot.py:92:20
	v_add_u32_e32 v16, 0, v83
	ds_read_b64_tr_b8 v[58:59], v16
	ds_read_b64_tr_b8 v[84:85], v16 offset:4096
	ds_read_b64_tr_b8 v[80:81], v16 offset:8192
	;; [unrolled: 1-line block ×3, first 2 shown]
	v_add_u32_e32 v16, 0, v82
	ds_read_b64_tr_b8 v[60:61], v16
	ds_read_b64_tr_b8 v[86:87], v16 offset:4096
	ds_read_b64_tr_b8 v[82:83], v16 offset:8192
	;; [unrolled: 1-line block ×3, first 2 shown]
	.loc	1 95 29                         ; int8_utils_aot.py:95:29
	v_mul_f32_e32 v16, 0x4f7ffffe, v17
	v_cvt_u32_f32_e32 v16, v16
	s_sub_i32 s3, 0, s0
	s_abs_i32 s2, s78
	s_xor_b32 s1, s78, s86
	v_readfirstlane_b32 s4, v16
	s_mul_i32 s3, s3, s4
	s_mul_hi_u32 s3, s4, s3
	s_add_i32 s4, s4, s3
	s_mul_hi_u32 s3, s2, s4
	s_mul_i32 s4, s3, s0
	s_sub_i32 s2, s2, s4
	s_ashr_i32 s1, s1, 31
	s_add_i32 s4, s3, 1
	s_sub_i32 s5, s2, s0
	s_cmp_ge_u32 s2, s0
	s_cselect_b32 s3, s4, s3
	s_cselect_b32 s2, s5, s2
	s_add_i32 s4, s3, 1
	s_cmp_ge_u32 s2, s0
	s_cselect_b32 s0, s4, s3
	s_xor_b32 s0, s0, s1
	s_sub_i32 s4, s0, s1
	.loc	1 96 42                         ; int8_utils_aot.py:96:42
	s_mul_i32 s2, s4, s8
	.loc	1 96 22 is_stmt 0               ; int8_utils_aot.py:96:22
	v_cndmask_b32_e64 v16, 0, 1, s[16:17]
	v_readlane_b32 s40, v255, 0
	v_cmp_ne_u32_e64 s[0:1], 1, v16
	s_andn2_b64 vcc, exec, s[16:17]
	.loc	1 96 32                         ; int8_utils_aot.py:96:32
	s_ashr_i32 s3, s2, 31
	v_readlane_b32 s41, v255, 1
	s_cbranch_vccnz .LBB0_654
; %bb.652:
	.loc	1 0 32                          ; int8_utils_aot.py:0:32
	v_lshl_add_u64 v[16:17], s[2:3], 2, v[196:197]
	.loc	1 96 22                         ; int8_utils_aot.py:96:22
	global_load_dword v36, v[16:17], off
	s_waitcnt vmcnt(0)
	v_mov_b32_e32 v37, v36
	s_and_b64 vcc, exec, s[0:1]
	s_cbranch_vccz .LBB0_655
.LBB0_653:
	.loc	1 0 22                          ; int8_utils_aot.py:0:22
	v_mov_b32_e32 v34, 0
	s_branch .LBB0_656
.LBB0_654:
	v_mov_b32_e32 v36, 0
	v_mov_b32_e32 v37, v36
	.loc	1 96 22                         ; int8_utils_aot.py:96:22
	s_and_b64 vcc, exec, s[0:1]
	s_cbranch_vccnz .LBB0_653
.LBB0_655:
	.loc	1 96 32                         ; int8_utils_aot.py:96:32
	v_lshl_add_u64 v[16:17], s[2:3], 2, v[194:195]
	.loc	1 96 22                         ; int8_utils_aot.py:96:22
	global_load_dword v34, v[16:17], off
.LBB0_656:
	.loc	1 97 42 is_stmt 1               ; int8_utils_aot.py:97:42
	s_mul_i32 s2, s4, s9
	s_waitcnt vmcnt(0)
	v_mov_b32_e32 v35, v34
	.loc	1 97 22 is_stmt 0               ; int8_utils_aot.py:97:22
	s_and_b64 vcc, exec, s[0:1]
	.loc	1 97 32                         ; int8_utils_aot.py:97:32
	s_ashr_i32 s3, s2, 31
	.loc	1 97 22                         ; int8_utils_aot.py:97:22
	s_cbranch_vccnz .LBB0_674
; %bb.657:
	.loc	1 0 22                          ; int8_utils_aot.py:0:22
	v_lshl_add_u64 v[16:17], s[2:3], 2, v[192:193]
	.loc	1 97 22                         ; int8_utils_aot.py:97:22
	global_load_dword v38, v[16:17], off
	s_and_b64 vcc, exec, s[0:1]
	s_cbranch_vccz .LBB0_675
.LBB0_658:
	.loc	1 0 22                          ; int8_utils_aot.py:0:22
	v_mov_b32_e32 v39, 0
	.loc	1 97 22                         ; int8_utils_aot.py:97:22
	s_and_b64 vcc, exec, s[0:1]
	s_cbranch_vccz .LBB0_676
.LBB0_659:
	.loc	1 0 22                          ; int8_utils_aot.py:0:22
	v_mov_b32_e32 v40, 0
	.loc	1 97 22                         ; int8_utils_aot.py:97:22
	s_and_b64 vcc, exec, s[0:1]
	s_cbranch_vccz .LBB0_677
.LBB0_660:
	.loc	1 0 22                          ; int8_utils_aot.py:0:22
	v_mov_b32_e32 v41, 0
	.loc	1 97 22                         ; int8_utils_aot.py:97:22
	s_and_b64 vcc, exec, s[0:1]
	s_cbranch_vccz .LBB0_678
.LBB0_661:
	.loc	1 0 22                          ; int8_utils_aot.py:0:22
	v_mov_b32_e32 v42, 0
	.loc	1 97 22                         ; int8_utils_aot.py:97:22
	s_and_b64 vcc, exec, s[0:1]
	s_cbranch_vccz .LBB0_679
.LBB0_662:
	.loc	1 0 22                          ; int8_utils_aot.py:0:22
	v_mov_b32_e32 v43, 0
	.loc	1 97 22                         ; int8_utils_aot.py:97:22
	s_and_b64 vcc, exec, s[0:1]
	s_cbranch_vccz .LBB0_680
.LBB0_663:
	.loc	1 0 22                          ; int8_utils_aot.py:0:22
	v_mov_b32_e32 v44, 0
	.loc	1 97 22                         ; int8_utils_aot.py:97:22
	s_and_b64 vcc, exec, s[0:1]
	s_cbranch_vccz .LBB0_681
.LBB0_664:
	.loc	1 0 22                          ; int8_utils_aot.py:0:22
	v_mov_b32_e32 v45, 0
	.loc	1 97 22                         ; int8_utils_aot.py:97:22
	s_and_b64 vcc, exec, s[0:1]
	s_cbranch_vccz .LBB0_682
.LBB0_665:
	.loc	1 0 22                          ; int8_utils_aot.py:0:22
	v_mov_b32_e32 v46, 0
	.loc	1 97 22                         ; int8_utils_aot.py:97:22
	s_and_b64 vcc, exec, s[0:1]
	s_cbranch_vccz .LBB0_683
.LBB0_666:
	.loc	1 0 22                          ; int8_utils_aot.py:0:22
	v_mov_b32_e32 v47, 0
	.loc	1 97 22                         ; int8_utils_aot.py:97:22
	s_and_b64 vcc, exec, s[0:1]
	s_cbranch_vccz .LBB0_684
.LBB0_667:
	.loc	1 0 22                          ; int8_utils_aot.py:0:22
	v_mov_b32_e32 v48, 0
	.loc	1 97 22                         ; int8_utils_aot.py:97:22
	s_and_b64 vcc, exec, s[0:1]
	s_cbranch_vccz .LBB0_685
.LBB0_668:
	.loc	1 0 22                          ; int8_utils_aot.py:0:22
	v_mov_b32_e32 v49, 0
	.loc	1 97 22                         ; int8_utils_aot.py:97:22
	s_and_b64 vcc, exec, s[0:1]
	s_cbranch_vccz .LBB0_686
.LBB0_669:
	.loc	1 0 22                          ; int8_utils_aot.py:0:22
	v_mov_b32_e32 v50, 0
	.loc	1 97 22                         ; int8_utils_aot.py:97:22
	s_and_b64 vcc, exec, s[0:1]
	s_cbranch_vccz .LBB0_687
.LBB0_670:
	.loc	1 0 22                          ; int8_utils_aot.py:0:22
	v_mov_b32_e32 v51, 0
	.loc	1 97 22                         ; int8_utils_aot.py:97:22
	s_and_b64 vcc, exec, s[0:1]
	s_cbranch_vccz .LBB0_688
.LBB0_671:
	.loc	1 0 22                          ; int8_utils_aot.py:0:22
	v_mov_b32_e32 v52, 0
	.loc	1 97 22                         ; int8_utils_aot.py:97:22
	s_and_b64 vcc, exec, s[0:1]
	s_cbranch_vccz .LBB0_689
.LBB0_672:
	.loc	1 0 22                          ; int8_utils_aot.py:0:22
	v_mov_b32_e32 v53, 0
	.loc	1 99 33 is_stmt 1               ; int8_utils_aot.py:99:33
	s_and_b64 vcc, exec, s[0:1]
	s_cbranch_vccz .LBB0_690
.LBB0_673:
	.loc	1 0 33 is_stmt 0                ; int8_utils_aot.py:0:33
	s_waitcnt lgkmcnt(14)
	v_mov_b32_e32 v0, 0
	v_mov_b32_e32 v1, v0
	;; [unrolled: 1-line block ×4, first 2 shown]
	s_waitcnt lgkmcnt(13)
	v_mov_b32_e32 v4, v0
	v_mov_b32_e32 v5, v0
	v_mov_b32_e32 v6, v0
	v_mov_b32_e32 v7, v0
	v_mov_b32_e32 v18, v0
	v_mov_b32_e32 v19, v0
	v_mov_b32_e32 v22, v0
	v_mov_b32_e32 v23, v0
	v_mov_b32_e32 v24, v0
	v_mov_b32_e32 v25, v0
	v_mov_b32_e32 v28, v0
	v_mov_b32_e32 v29, v0
	v_mov_b32_e32 v16, v0
	v_mov_b32_e32 v17, v0
	v_mov_b32_e32 v20, v0
	v_mov_b32_e32 v21, v0
	v_mov_b32_e32 v26, v0
	v_mov_b32_e32 v27, v0
	v_mov_b32_e32 v54, v0
	v_mov_b32_e32 v55, v0
	v_mov_b32_e32 v56, v0
	v_mov_b32_e32 v57, v0
	s_waitcnt lgkmcnt(7)
	v_mov_b32_e32 v58, v0
	v_mov_b32_e32 v59, v0
	s_waitcnt lgkmcnt(3)
	v_mov_b32_e32 v60, v0
	v_mov_b32_e32 v61, v0
	;; [unrolled: 1-line block ×4, first 2 shown]
	.loc	1 99 33                         ; int8_utils_aot.py:99:33
	s_branch .LBB0_691
.LBB0_674:
	.loc	1 0 33                          ; int8_utils_aot.py:0:33
	v_mov_b32_e32 v38, 0
	.loc	1 97 22 is_stmt 1               ; int8_utils_aot.py:97:22
	s_and_b64 vcc, exec, s[0:1]
	s_cbranch_vccnz .LBB0_658
.LBB0_675:
	.loc	1 97 32 is_stmt 0               ; int8_utils_aot.py:97:32
	v_lshl_add_u64 v[16:17], s[2:3], 2, v[190:191]
	.loc	1 97 22                         ; int8_utils_aot.py:97:22
	global_load_dword v39, v[16:17], off
	s_and_b64 vcc, exec, s[0:1]
	s_cbranch_vccnz .LBB0_659
.LBB0_676:
	.loc	1 97 32                         ; int8_utils_aot.py:97:32
	v_lshl_add_u64 v[16:17], s[2:3], 2, v[188:189]
	.loc	1 97 22                         ; int8_utils_aot.py:97:22
	global_load_dword v40, v[16:17], off
	s_and_b64 vcc, exec, s[0:1]
	s_cbranch_vccnz .LBB0_660
.LBB0_677:
	.loc	1 97 32                         ; int8_utils_aot.py:97:32
	v_lshl_add_u64 v[16:17], s[2:3], 2, v[186:187]
	.loc	1 97 22                         ; int8_utils_aot.py:97:22
	global_load_dword v41, v[16:17], off
	s_and_b64 vcc, exec, s[0:1]
	s_cbranch_vccnz .LBB0_661
.LBB0_678:
	.loc	1 97 32                         ; int8_utils_aot.py:97:32
	v_lshl_add_u64 v[16:17], s[2:3], 2, v[184:185]
	.loc	1 97 22                         ; int8_utils_aot.py:97:22
	global_load_dword v42, v[16:17], off
	s_and_b64 vcc, exec, s[0:1]
	s_cbranch_vccnz .LBB0_662
.LBB0_679:
	.loc	1 97 32                         ; int8_utils_aot.py:97:32
	v_lshl_add_u64 v[16:17], s[2:3], 2, v[182:183]
	.loc	1 97 22                         ; int8_utils_aot.py:97:22
	global_load_dword v43, v[16:17], off
	s_and_b64 vcc, exec, s[0:1]
	s_cbranch_vccnz .LBB0_663
.LBB0_680:
	.loc	1 97 32                         ; int8_utils_aot.py:97:32
	v_lshl_add_u64 v[16:17], s[2:3], 2, v[180:181]
	.loc	1 97 22                         ; int8_utils_aot.py:97:22
	global_load_dword v44, v[16:17], off
	s_and_b64 vcc, exec, s[0:1]
	s_cbranch_vccnz .LBB0_664
.LBB0_681:
	.loc	1 97 32                         ; int8_utils_aot.py:97:32
	v_lshl_add_u64 v[16:17], s[2:3], 2, v[178:179]
	.loc	1 97 22                         ; int8_utils_aot.py:97:22
	global_load_dword v45, v[16:17], off
	s_and_b64 vcc, exec, s[0:1]
	s_cbranch_vccnz .LBB0_665
.LBB0_682:
	.loc	1 97 32                         ; int8_utils_aot.py:97:32
	v_lshl_add_u64 v[16:17], s[2:3], 2, v[176:177]
	.loc	1 97 22                         ; int8_utils_aot.py:97:22
	global_load_dword v46, v[16:17], off
	s_and_b64 vcc, exec, s[0:1]
	s_cbranch_vccnz .LBB0_666
.LBB0_683:
	.loc	1 97 32                         ; int8_utils_aot.py:97:32
	v_lshl_add_u64 v[16:17], s[2:3], 2, v[174:175]
	.loc	1 97 22                         ; int8_utils_aot.py:97:22
	global_load_dword v47, v[16:17], off
	s_and_b64 vcc, exec, s[0:1]
	s_cbranch_vccnz .LBB0_667
.LBB0_684:
	.loc	1 97 32                         ; int8_utils_aot.py:97:32
	v_lshl_add_u64 v[16:17], s[2:3], 2, v[172:173]
	.loc	1 97 22                         ; int8_utils_aot.py:97:22
	global_load_dword v48, v[16:17], off
	s_and_b64 vcc, exec, s[0:1]
	s_cbranch_vccnz .LBB0_668
.LBB0_685:
	.loc	1 97 32                         ; int8_utils_aot.py:97:32
	v_lshl_add_u64 v[16:17], s[2:3], 2, v[170:171]
	.loc	1 97 22                         ; int8_utils_aot.py:97:22
	global_load_dword v49, v[16:17], off
	s_and_b64 vcc, exec, s[0:1]
	s_cbranch_vccnz .LBB0_669
.LBB0_686:
	.loc	1 97 32                         ; int8_utils_aot.py:97:32
	v_lshl_add_u64 v[16:17], s[2:3], 2, v[168:169]
	.loc	1 97 22                         ; int8_utils_aot.py:97:22
	global_load_dword v50, v[16:17], off
	s_and_b64 vcc, exec, s[0:1]
	s_cbranch_vccnz .LBB0_670
.LBB0_687:
	.loc	1 97 32                         ; int8_utils_aot.py:97:32
	v_lshl_add_u64 v[16:17], s[2:3], 2, v[166:167]
	.loc	1 97 22                         ; int8_utils_aot.py:97:22
	global_load_dword v51, v[16:17], off
	s_and_b64 vcc, exec, s[0:1]
	s_cbranch_vccnz .LBB0_671
.LBB0_688:
	.loc	1 97 32                         ; int8_utils_aot.py:97:32
	v_lshl_add_u64 v[16:17], s[2:3], 2, v[164:165]
	.loc	1 97 22                         ; int8_utils_aot.py:97:22
	global_load_dword v52, v[16:17], off
	s_and_b64 vcc, exec, s[0:1]
	s_cbranch_vccnz .LBB0_672
.LBB0_689:
	.loc	1 97 32                         ; int8_utils_aot.py:97:32
	v_lshl_add_u64 v[16:17], s[2:3], 2, v[162:163]
	.loc	1 97 22                         ; int8_utils_aot.py:97:22
	global_load_dword v53, v[16:17], off
	.loc	1 99 33 is_stmt 1               ; int8_utils_aot.py:99:33
	s_and_b64 vcc, exec, s[0:1]
	s_cbranch_vccnz .LBB0_673
.LBB0_690:
	s_waitcnt lgkmcnt(3)
	v_mfma_i32_32x32x32_i8 v[16:31], v[58:61], v[0:3], 0
	s_waitcnt lgkmcnt(2)
	v_mfma_i32_32x32x32_i8 v[16:31], v[84:87], v[4:7], v[16:31]
	;; [unrolled: 2-line block ×4, first 2 shown]
	v_mfma_i32_32x32x32_i8 v[0:15], v[58:61], v[54:57], 0
	.loc	1 99 39 is_stmt 0               ; int8_utils_aot.py:99:39
	s_nop 10
	v_cvt_f32_i32_e32 v62, v16
	v_cvt_f32_i32_e32 v63, v17
	;; [unrolled: 1-line block ×3, first 2 shown]
	.loc	1 99 33                         ; int8_utils_aot.py:99:33
	v_mfma_i32_32x32x32_i8 v[0:15], v[84:87], v[76:79], v[0:15]
	.loc	1 99 39                         ; int8_utils_aot.py:99:39
	v_cvt_f32_i32_e32 v61, v19
	v_cvt_f32_i32_e32 v58, v20
	;; [unrolled: 1-line block ×7, first 2 shown]
	.loc	1 99 33                         ; int8_utils_aot.py:99:33
	v_mfma_i32_32x32x32_i8 v[0:15], v[80:83], v[68:71], v[0:15]
	.loc	1 99 39                         ; int8_utils_aot.py:99:39
	v_cvt_f32_i32_e32 v26, v26
	v_cvt_f32_i32_e32 v27, v27
	;; [unrolled: 1-line block ×6, first 2 shown]
	.loc	1 99 33                         ; int8_utils_aot.py:99:33
	v_mfma_i32_32x32x32_i8 v[0:15], v[72:75], v[64:67], v[0:15]
	.loc	1 99 39                         ; int8_utils_aot.py:99:39
	s_nop 11
	v_cvt_f32_i32_e32 v28, v0
	v_cvt_f32_i32_e32 v29, v1
	;; [unrolled: 1-line block ×16, first 2 shown]
.LBB0_691:
	.loc	1 0 39                          ; int8_utils_aot.py:0:39
	v_accvgpr_read_b32 v8, a158
	.loc	1 80 51 is_stmt 1               ; int8_utils_aot.py:80:51
	v_lshrrev_b32_e32 v8, 2, v8
	v_or_b32_e32 v8, s18, v8
	.loc	1 80 38 is_stmt 0               ; int8_utils_aot.py:80:38
	v_or_b32_e32 v64, s33, v8
	.loc	1 99 53 is_stmt 1               ; int8_utils_aot.py:99:53
	v_pk_mul_f32 v[8:9], v[36:37], v[62:63]
	v_pk_mul_f32 v[4:5], v[34:35], v[4:5]
	.loc	1 99 23 is_stmt 0               ; int8_utils_aot.py:99:23
	s_waitcnt vmcnt(0)
	v_pk_fma_f32 v[8:9], v[38:39], v[8:9], v[226:227]
	v_pk_fma_f32 v[4:5], v[48:49], v[4:5], v[200:201]
	.loc	1 90 22 is_stmt 1               ; int8_utils_aot.py:90:22
	v_cndmask_b32_e64 v10, v227, v9, s[16:17]
	v_cndmask_b32_e64 v11, v226, v8, s[16:17]
	.loc	1 99 53                         ; int8_utils_aot.py:99:53
	v_pk_mul_f32 v[8:9], v[36:37], v[60:61]
	v_pk_mul_f32 v[0:1], v[34:35], v[0:1]
	.loc	1 99 23 is_stmt 0               ; int8_utils_aot.py:99:23
	v_pk_fma_f32 v[8:9], v[40:41], v[8:9], v[224:225]
	.loc	1 90 22 is_stmt 1               ; int8_utils_aot.py:90:22
	v_cndmask_b32_e64 v5, v201, v5, s[16:17]
	v_cndmask_b32_e64 v12, v225, v9, s[16:17]
	;; [unrolled: 1-line block ×3, first 2 shown]
	.loc	1 99 53                         ; int8_utils_aot.py:99:53
	v_pk_mul_f32 v[8:9], v[36:37], v[58:59]
	.loc	1 90 22                         ; int8_utils_aot.py:90:22
	v_cndmask_b32_e64 v4, v200, v4, s[16:17]
	.loc	1 99 23                         ; int8_utils_aot.py:99:23
	v_pk_fma_f32 v[8:9], v[42:43], v[8:9], v[222:223]
	v_pk_fma_f32 v[0:1], v[52:53], v[0:1], v[32:33]
	.loc	1 90 22                         ; int8_utils_aot.py:90:22
	v_cndmask_b32_e64 v14, v223, v9, s[16:17]
	v_cndmask_b32_e64 v15, v222, v8, s[16:17]
	.loc	1 99 53                         ; int8_utils_aot.py:99:53
	v_pk_mul_f32 v[8:9], v[36:37], v[56:57]
	v_pk_mul_f32 v[6:7], v[34:35], v[6:7]
	.loc	1 99 23 is_stmt 0               ; int8_utils_aot.py:99:23
	v_pk_fma_f32 v[8:9], v[44:45], v[8:9], v[220:221]
	.loc	1 99 53                         ; int8_utils_aot.py:99:53
	v_pk_mul_f32 v[2:3], v[34:35], v[2:3]
	.loc	1 90 22 is_stmt 1               ; int8_utils_aot.py:90:22
	v_cndmask_b32_e64 v30, v221, v9, s[16:17]
	v_cndmask_b32_e64 v31, v220, v8, s[16:17]
	.loc	1 99 53                         ; int8_utils_aot.py:99:53
	v_pk_mul_f32 v[8:9], v[36:37], v[54:55]
	.loc	1 90 22                         ; int8_utils_aot.py:90:22
	v_cndmask_b32_e64 v1, v33, v1, s[16:17]
	.loc	1 99 23                         ; int8_utils_aot.py:99:23
	v_pk_fma_f32 v[8:9], v[46:47], v[8:9], v[218:219]
	.loc	1 90 22                         ; int8_utils_aot.py:90:22
	v_cndmask_b32_e64 v0, v32, v0, s[16:17]
	v_cndmask_b32_e64 v54, v219, v9, s[16:17]
	;; [unrolled: 1-line block ×3, first 2 shown]
	.loc	1 99 53                         ; int8_utils_aot.py:99:53
	v_pk_mul_f32 v[8:9], v[36:37], v[26:27]
	.loc	1 99 23 is_stmt 0               ; int8_utils_aot.py:99:23
	v_pk_fma_f32 v[6:7], v[46:47], v[6:7], v[202:203]
	v_pk_fma_f32 v[8:9], v[48:49], v[8:9], v[216:217]
	v_pk_fma_f32 v[2:3], v[50:51], v[2:3], v[198:199]
	.loc	1 90 22 is_stmt 1               ; int8_utils_aot.py:90:22
	v_cndmask_b32_e64 v26, v217, v9, s[16:17]
	v_cndmask_b32_e64 v27, v216, v8, s[16:17]
	.loc	1 99 53                         ; int8_utils_aot.py:99:53
	v_pk_mul_f32 v[8:9], v[36:37], v[20:21]
	.loc	1 90 22                         ; int8_utils_aot.py:90:22
	v_cndmask_b32_e64 v7, v203, v7, s[16:17]
	.loc	1 99 23                         ; int8_utils_aot.py:99:23
	v_pk_fma_f32 v[8:9], v[50:51], v[8:9], v[214:215]
	.loc	1 90 22                         ; int8_utils_aot.py:90:22
	v_cndmask_b32_e64 v3, v199, v3, s[16:17]
	v_cndmask_b32_e64 v20, v215, v9, s[16:17]
	;; [unrolled: 1-line block ×3, first 2 shown]
	.loc	1 99 53                         ; int8_utils_aot.py:99:53
	v_pk_mul_f32 v[8:9], v[36:37], v[16:17]
	.loc	1 90 22                         ; int8_utils_aot.py:90:22
	v_cndmask_b32_e64 v2, v198, v2, s[16:17]
	.loc	1 99 23                         ; int8_utils_aot.py:99:23
	v_pk_fma_f32 v[8:9], v[52:53], v[8:9], v[212:213]
	.loc	1 106 27                        ; int8_utils_aot.py:106:27
	v_cvt_pk_f16_f32 v14, v15, v14
	.loc	1 90 22                         ; int8_utils_aot.py:90:22
	v_cndmask_b32_e64 v16, v213, v9, s[16:17]
	v_cndmask_b32_e64 v17, v212, v8, s[16:17]
	.loc	1 99 53                         ; int8_utils_aot.py:99:53
	v_pk_mul_f32 v[8:9], v[34:35], v[28:29]
	.loc	1 106 27                        ; int8_utils_aot.py:106:27
	v_cvt_pk_f16_f32 v26, v27, v26
	.loc	1 99 23                         ; int8_utils_aot.py:99:23
	v_pk_fma_f32 v[8:9], v[38:39], v[8:9], v[210:211]
	.loc	1 113 58                        ; int8_utils_aot.py:113:58
	v_cmp_gt_i32_e32 vcc, s13, v64
	.loc	1 90 22                         ; int8_utils_aot.py:90:22
	v_cndmask_b32_e64 v28, v211, v9, s[16:17]
	v_cndmask_b32_e64 v29, v210, v8, s[16:17]
	.loc	1 99 53                         ; int8_utils_aot.py:99:53
	v_pk_mul_f32 v[8:9], v[34:35], v[24:25]
	.loc	1 99 23 is_stmt 0               ; int8_utils_aot.py:99:23
	s_nop 0
	v_pk_fma_f32 v[8:9], v[40:41], v[8:9], v[208:209]
	.loc	1 106 27 is_stmt 1              ; int8_utils_aot.py:106:27
	v_cvt_pk_f16_f32 v41, v29, v28
	.loc	1 90 22                         ; int8_utils_aot.py:90:22
	v_cndmask_b32_e64 v24, v209, v9, s[16:17]
	v_cndmask_b32_e64 v25, v208, v8, s[16:17]
	.loc	1 99 53                         ; int8_utils_aot.py:99:53
	v_pk_mul_f32 v[8:9], v[34:35], v[22:23]
	.loc	1 106 27                        ; int8_utils_aot.py:106:27
	v_cvt_pk_f16_f32 v22, v55, v54
	.loc	1 99 23                         ; int8_utils_aot.py:99:23
	v_pk_fma_f32 v[8:9], v[42:43], v[8:9], v[206:207]
	.loc	1 106 27                        ; int8_utils_aot.py:106:27
	v_cvt_pk_f16_f32 v42, v17, v16
	.loc	1 90 22                         ; int8_utils_aot.py:90:22
	v_cndmask_b32_e64 v23, v207, v9, s[16:17]
	v_cndmask_b32_e64 v36, v206, v8, s[16:17]
	.loc	1 99 53                         ; int8_utils_aot.py:99:53
	v_pk_mul_f32 v[8:9], v[34:35], v[18:19]
	.loc	1 106 27                        ; int8_utils_aot.py:106:27
	v_cvt_pk_f16_f32 v39, v36, v23
	v_cvt_pk_f16_f32 v36, v4, v5
	v_accvgpr_read_b32 v4, a129
	.loc	1 99 23                         ; int8_utils_aot.py:99:23
	v_pk_fma_f32 v[8:9], v[44:45], v[8:9], v[204:205]
	.loc	1 106 27                        ; int8_utils_aot.py:106:27
	v_cvt_pk_f16_f32 v34, v0, v1
	.loc	1 112 29                        ; int8_utils_aot.py:112:29
	v_mul_lo_u32 v0, v4, s38
	.loc	1 90 22                         ; int8_utils_aot.py:90:22
	v_cndmask_b32_e64 v9, v205, v9, s[16:17]
	v_cndmask_b32_e64 v8, v204, v8, s[16:17]
	v_cndmask_b32_e64 v19, v202, v6, s[16:17]
	.loc	1 112 17                        ; int8_utils_aot.py:112:17
	v_ashrrev_i32_e32 v1, 31, v0
	.loc	1 106 27                        ; int8_utils_aot.py:106:27
	v_cvt_pk_f16_f32 v6, v11, v10
	v_cvt_pk_f16_f32 v10, v13, v12
	;; [unrolled: 1-line block ×8, first 2 shown]
	.loc	1 112 17                        ; int8_utils_aot.py:112:17
	v_lshl_add_u64 v[2:3], v[0:1], 1, s[40:41]
	.loc	1 112 60 is_stmt 0              ; int8_utils_aot.py:112:60
	v_mul_lo_u32 v0, v64, s39
	.loc	1 113 33 is_stmt 1              ; int8_utils_aot.py:113:33
	v_cmp_gt_i32_e64 s[0:1], s12, v4
	.loc	1 112 48                        ; int8_utils_aot.py:112:48
	v_ashrrev_i32_e32 v1, 31, v0
	.loc	1 113 39                        ; int8_utils_aot.py:113:39
	s_and_b64 s[4:5], s[0:1], vcc
	.loc	1 106 27                        ; int8_utils_aot.py:106:27
	v_permlane32_swap_b32_e32 v6, v14
	v_permlane32_swap_b32_e32 v10, v18
	;; [unrolled: 1-line block ×8, first 2 shown]
	.loc	1 114 21                        ; int8_utils_aot.py:114:21
	s_and_saveexec_b64 s[2:3], s[4:5]
	s_cbranch_execz .LBB0_693
; %bb.692:
	.loc	1 0 21 is_stmt 0                ; int8_utils_aot.py:0:21
	v_lshl_add_u64 v[4:5], v[0:1], 1, v[2:3]
	.loc	1 114 21                        ; int8_utils_aot.py:114:21
	global_store_short v[4:5], v6, off
.LBB0_693:
	.loc	1 0 21                          ; int8_utils_aot.py:0:21
	s_or_b64 exec, exec, s[2:3]
	.loc	1 80 38 is_stmt 1               ; int8_utils_aot.py:80:38
	v_or_b32_e32 v7, 1, v64
	.loc	1 112 60                        ; int8_utils_aot.py:112:60
	v_mul_lo_u32 v4, v7, s39
	.loc	1 112 48 is_stmt 0              ; int8_utils_aot.py:112:48
	v_ashrrev_i32_e32 v5, 31, v4
	.loc	1 113 58 is_stmt 1              ; int8_utils_aot.py:113:58
	v_cmp_gt_i32_e64 s[2:3], s13, v7
	.loc	1 113 39 is_stmt 0              ; int8_utils_aot.py:113:39
	s_and_b64 s[6:7], s[0:1], s[2:3]
	.loc	1 114 21 is_stmt 1              ; int8_utils_aot.py:114:21
	s_mov_b64 s[4:5], exec
	s_and_b64 s[6:7], s[4:5], s[6:7]
	v_accvgpr_read_b32 v44, a128
	s_mov_b64 exec, s[6:7]
	s_cbranch_execz .LBB0_695
; %bb.694:
	.loc	1 112 48                        ; int8_utils_aot.py:112:48
	v_lshl_add_u64 v[8:9], v[4:5], 1, v[2:3]
	.loc	1 114 21                        ; int8_utils_aot.py:114:21
	global_store_short_d16_hi v[8:9], v6, off
.LBB0_695:
	.loc	1 0 21 is_stmt 0                ; int8_utils_aot.py:0:21
	s_or_b64 exec, exec, s[4:5]
	.loc	1 80 38 is_stmt 1               ; int8_utils_aot.py:80:38
	v_or_b32_e32 v8, 2, v64
	.loc	1 112 60                        ; int8_utils_aot.py:112:60
	v_mul_lo_u32 v6, v8, s39
	.loc	1 113 58                        ; int8_utils_aot.py:113:58
	v_cmp_gt_i32_e64 s[4:5], s13, v8
	.loc	1 112 48                        ; int8_utils_aot.py:112:48
	v_ashrrev_i32_e32 v7, 31, v6
	.loc	1 113 39                        ; int8_utils_aot.py:113:39
	s_and_b64 s[6:7], s[0:1], s[4:5]
	.loc	1 114 21                        ; int8_utils_aot.py:114:21
	s_and_saveexec_b64 s[8:9], s[6:7]
	s_cbranch_execz .LBB0_697
; %bb.696:
	.loc	1 112 48                        ; int8_utils_aot.py:112:48
	v_lshl_add_u64 v[8:9], v[6:7], 1, v[2:3]
	.loc	1 114 21                        ; int8_utils_aot.py:114:21
	global_store_short v[8:9], v10, off
.LBB0_697:
	.loc	1 0 21 is_stmt 0                ; int8_utils_aot.py:0:21
	s_or_b64 exec, exec, s[8:9]
	.loc	1 80 38 is_stmt 1               ; int8_utils_aot.py:80:38
	v_or_b32_e32 v11, 3, v64
	.loc	1 112 60                        ; int8_utils_aot.py:112:60
	v_mul_lo_u32 v8, v11, s39
	.loc	1 113 58                        ; int8_utils_aot.py:113:58
	v_cmp_gt_i32_e64 s[8:9], s13, v11
	.loc	1 112 48                        ; int8_utils_aot.py:112:48
	v_ashrrev_i32_e32 v9, 31, v8
	.loc	1 113 39                        ; int8_utils_aot.py:113:39
	s_and_b64 s[6:7], s[0:1], s[8:9]
	.loc	1 114 21                        ; int8_utils_aot.py:114:21
	s_and_saveexec_b64 s[10:11], s[6:7]
	s_cbranch_execz .LBB0_699
; %bb.698:
	.loc	1 112 48                        ; int8_utils_aot.py:112:48
	v_lshl_add_u64 v[12:13], v[8:9], 1, v[2:3]
	.loc	1 114 21                        ; int8_utils_aot.py:114:21
	global_store_short_d16_hi v[12:13], v10, off
.LBB0_699:
	.loc	1 0 21 is_stmt 0                ; int8_utils_aot.py:0:21
	s_or_b64 exec, exec, s[10:11]
	.loc	1 80 38 is_stmt 1               ; int8_utils_aot.py:80:38
	v_or_b32_e32 v12, 4, v64
	.loc	1 112 60                        ; int8_utils_aot.py:112:60
	v_mul_lo_u32 v10, v12, s39
	.loc	1 113 58                        ; int8_utils_aot.py:113:58
	v_cmp_gt_i32_e64 s[10:11], s13, v12
	.loc	1 112 48                        ; int8_utils_aot.py:112:48
	v_ashrrev_i32_e32 v11, 31, v10
	.loc	1 113 39                        ; int8_utils_aot.py:113:39
	s_and_b64 s[6:7], s[0:1], s[10:11]
	.loc	1 114 21                        ; int8_utils_aot.py:114:21
	s_and_saveexec_b64 s[14:15], s[6:7]
	s_cbranch_execz .LBB0_701
; %bb.700:
	.loc	1 112 48                        ; int8_utils_aot.py:112:48
	v_lshl_add_u64 v[12:13], v[10:11], 1, v[2:3]
	.loc	1 114 21                        ; int8_utils_aot.py:114:21
	global_store_short v[12:13], v14, off
.LBB0_701:
	.loc	1 0 21 is_stmt 0                ; int8_utils_aot.py:0:21
	s_or_b64 exec, exec, s[14:15]
	.loc	1 80 38 is_stmt 1               ; int8_utils_aot.py:80:38
	v_or_b32_e32 v15, 5, v64
	.loc	1 112 60                        ; int8_utils_aot.py:112:60
	v_mul_lo_u32 v12, v15, s39
	.loc	1 113 58                        ; int8_utils_aot.py:113:58
	v_cmp_gt_i32_e64 s[36:37], s13, v15
	.loc	1 112 48                        ; int8_utils_aot.py:112:48
	v_ashrrev_i32_e32 v13, 31, v12
	.loc	1 113 39                        ; int8_utils_aot.py:113:39
	s_and_b64 s[6:7], s[0:1], s[36:37]
	.loc	1 114 21                        ; int8_utils_aot.py:114:21
	s_and_saveexec_b64 s[14:15], s[6:7]
	;; [unrolled: 42-line block ×7, first 2 shown]
	s_cbranch_execz .LBB0_723
; %bb.722:
	.loc	1 112 48                        ; int8_utils_aot.py:112:48
	v_lshl_add_u64 v[2:3], v[32:33], 1, v[2:3]
	.loc	1 114 21                        ; int8_utils_aot.py:114:21
	global_store_short_d16_hi v[2:3], v42, off
.LBB0_723:
	.loc	1 0 21 is_stmt 0                ; int8_utils_aot.py:0:21
	s_or_b64 exec, exec, s[0:1]
	.loc	1 112 29 is_stmt 1              ; int8_utils_aot.py:112:29
	v_mul_lo_u32 v2, s38, v44
	.loc	1 112 17 is_stmt 0              ; int8_utils_aot.py:112:17
	v_ashrrev_i32_e32 v3, 31, v2
	.loc	1 113 33 is_stmt 1              ; int8_utils_aot.py:113:33
	v_cmp_gt_i32_e64 s[0:1], s12, v44
	.loc	1 112 17                        ; int8_utils_aot.py:112:17
	v_lshl_add_u64 v[2:3], v[2:3], 1, s[40:41]
	.loc	1 113 39                        ; int8_utils_aot.py:113:39
	s_and_b64 s[12:13], s[0:1], vcc
	.loc	1 114 21                        ; int8_utils_aot.py:114:21
	s_and_saveexec_b64 s[6:7], s[12:13]
	s_cbranch_execnz .LBB0_740
; %bb.724:
	.loc	1 0 21 is_stmt 0                ; int8_utils_aot.py:0:21
	s_or_b64 exec, exec, s[6:7]
	.loc	1 113 39 is_stmt 1              ; int8_utils_aot.py:113:39
	s_and_b64 s[6:7], s[0:1], s[2:3]
	.loc	1 114 21                        ; int8_utils_aot.py:114:21
	s_and_saveexec_b64 s[2:3], s[6:7]
	s_cbranch_execnz .LBB0_741
.LBB0_725:
	.loc	1 0 21 is_stmt 0                ; int8_utils_aot.py:0:21
	s_or_b64 exec, exec, s[2:3]
	.loc	1 113 39 is_stmt 1              ; int8_utils_aot.py:113:39
	s_and_b64 s[4:5], s[0:1], s[4:5]
	.loc	1 114 21                        ; int8_utils_aot.py:114:21
	s_and_saveexec_b64 s[2:3], s[4:5]
	s_cbranch_execnz .LBB0_742
.LBB0_726:
	.loc	1 0 21 is_stmt 0                ; int8_utils_aot.py:0:21
	s_or_b64 exec, exec, s[2:3]
	.loc	1 113 39 is_stmt 1              ; int8_utils_aot.py:113:39
	s_and_b64 s[4:5], s[0:1], s[8:9]
	.loc	1 114 21                        ; int8_utils_aot.py:114:21
	s_and_saveexec_b64 s[2:3], s[4:5]
	s_cbranch_execnz .LBB0_743
.LBB0_727:
	.loc	1 0 21 is_stmt 0                ; int8_utils_aot.py:0:21
	s_or_b64 exec, exec, s[2:3]
	.loc	1 113 39 is_stmt 1              ; int8_utils_aot.py:113:39
	s_and_b64 s[4:5], s[0:1], s[10:11]
	.loc	1 114 21                        ; int8_utils_aot.py:114:21
	s_and_saveexec_b64 s[2:3], s[4:5]
	s_cbranch_execnz .LBB0_744
.LBB0_728:
	.loc	1 0 21 is_stmt 0                ; int8_utils_aot.py:0:21
	s_or_b64 exec, exec, s[2:3]
	.loc	1 113 39 is_stmt 1              ; int8_utils_aot.py:113:39
	s_and_b64 s[4:5], s[0:1], s[36:37]
	.loc	1 114 21                        ; int8_utils_aot.py:114:21
	s_and_saveexec_b64 s[2:3], s[4:5]
	s_cbranch_execnz .LBB0_745
.LBB0_729:
	.loc	1 0 21 is_stmt 0                ; int8_utils_aot.py:0:21
	s_or_b64 exec, exec, s[2:3]
	.loc	1 113 39 is_stmt 1              ; int8_utils_aot.py:113:39
	s_and_b64 s[4:5], s[0:1], s[14:15]
	.loc	1 114 21                        ; int8_utils_aot.py:114:21
	s_and_saveexec_b64 s[2:3], s[4:5]
	s_cbranch_execnz .LBB0_746
.LBB0_730:
	.loc	1 0 21 is_stmt 0                ; int8_utils_aot.py:0:21
	s_or_b64 exec, exec, s[2:3]
	.loc	1 113 39 is_stmt 1              ; int8_utils_aot.py:113:39
	s_and_b64 s[4:5], s[0:1], s[16:17]
	.loc	1 114 21                        ; int8_utils_aot.py:114:21
	s_and_saveexec_b64 s[2:3], s[4:5]
	s_cbranch_execnz .LBB0_747
.LBB0_731:
	.loc	1 0 21 is_stmt 0                ; int8_utils_aot.py:0:21
	s_or_b64 exec, exec, s[2:3]
	.loc	1 113 39 is_stmt 1              ; int8_utils_aot.py:113:39
	s_and_b64 s[4:5], s[0:1], s[18:19]
	.loc	1 114 21                        ; int8_utils_aot.py:114:21
	s_and_saveexec_b64 s[2:3], s[4:5]
	s_cbranch_execnz .LBB0_748
.LBB0_732:
	.loc	1 0 21 is_stmt 0                ; int8_utils_aot.py:0:21
	s_or_b64 exec, exec, s[2:3]
	.loc	1 113 39 is_stmt 1              ; int8_utils_aot.py:113:39
	s_and_b64 s[4:5], s[0:1], s[20:21]
	.loc	1 114 21                        ; int8_utils_aot.py:114:21
	s_and_saveexec_b64 s[2:3], s[4:5]
	s_cbranch_execnz .LBB0_749
.LBB0_733:
	.loc	1 0 21 is_stmt 0                ; int8_utils_aot.py:0:21
	s_or_b64 exec, exec, s[2:3]
	.loc	1 113 39 is_stmt 1              ; int8_utils_aot.py:113:39
	s_and_b64 s[4:5], s[0:1], s[22:23]
	.loc	1 114 21                        ; int8_utils_aot.py:114:21
	s_and_saveexec_b64 s[2:3], s[4:5]
	s_cbranch_execnz .LBB0_750
.LBB0_734:
	.loc	1 0 21 is_stmt 0                ; int8_utils_aot.py:0:21
	s_or_b64 exec, exec, s[2:3]
	.loc	1 113 39 is_stmt 1              ; int8_utils_aot.py:113:39
	s_and_b64 s[4:5], s[0:1], s[24:25]
	.loc	1 114 21                        ; int8_utils_aot.py:114:21
	s_and_saveexec_b64 s[2:3], s[4:5]
	s_cbranch_execnz .LBB0_751
.LBB0_735:
	.loc	1 0 21 is_stmt 0                ; int8_utils_aot.py:0:21
	s_or_b64 exec, exec, s[2:3]
	.loc	1 113 39 is_stmt 1              ; int8_utils_aot.py:113:39
	s_and_b64 s[4:5], s[0:1], s[26:27]
	.loc	1 114 21                        ; int8_utils_aot.py:114:21
	s_and_saveexec_b64 s[2:3], s[4:5]
	s_cbranch_execnz .LBB0_752
.LBB0_736:
	.loc	1 0 21 is_stmt 0                ; int8_utils_aot.py:0:21
	s_or_b64 exec, exec, s[2:3]
	.loc	1 113 39 is_stmt 1              ; int8_utils_aot.py:113:39
	s_and_b64 s[4:5], s[0:1], s[28:29]
	.loc	1 114 21                        ; int8_utils_aot.py:114:21
	s_and_saveexec_b64 s[2:3], s[4:5]
	s_cbranch_execnz .LBB0_753
.LBB0_737:
	.loc	1 0 21 is_stmt 0                ; int8_utils_aot.py:0:21
	s_or_b64 exec, exec, s[2:3]
	.loc	1 113 39 is_stmt 1              ; int8_utils_aot.py:113:39
	s_and_b64 s[4:5], s[0:1], s[30:31]
	.loc	1 114 21                        ; int8_utils_aot.py:114:21
	s_and_saveexec_b64 s[2:3], s[4:5]
	s_cbranch_execnz .LBB0_754
.LBB0_738:
	.loc	1 0 21 is_stmt 0                ; int8_utils_aot.py:0:21
	s_or_b64 exec, exec, s[2:3]
	.loc	1 113 39 is_stmt 1              ; int8_utils_aot.py:113:39
	s_and_b64 s[0:1], s[0:1], s[34:35]
	.loc	1 114 21                        ; int8_utils_aot.py:114:21
	s_and_saveexec_b64 s[2:3], s[0:1]
	s_cbranch_execnz .LBB0_755
.LBB0_739:
	.loc	1 114 4 is_stmt 0               ; int8_utils_aot.py:114:4
	s_endpgm
.LBB0_740:
	.loc	1 112 48 is_stmt 1              ; int8_utils_aot.py:112:48
	v_lshl_add_u64 v[0:1], v[0:1], 1, v[2:3]
	.loc	1 114 21                        ; int8_utils_aot.py:114:21
	global_store_short v[0:1], v41, off
	s_or_b64 exec, exec, s[6:7]
	.loc	1 113 39                        ; int8_utils_aot.py:113:39
	s_and_b64 s[6:7], s[0:1], s[2:3]
	.loc	1 114 21                        ; int8_utils_aot.py:114:21
	s_and_saveexec_b64 s[2:3], s[6:7]
	s_cbranch_execz .LBB0_725
.LBB0_741:
	.loc	1 112 48                        ; int8_utils_aot.py:112:48
	v_lshl_add_u64 v[0:1], v[4:5], 1, v[2:3]
	.loc	1 114 21                        ; int8_utils_aot.py:114:21
	global_store_short_d16_hi v[0:1], v41, off
	s_or_b64 exec, exec, s[2:3]
	.loc	1 113 39                        ; int8_utils_aot.py:113:39
	s_and_b64 s[4:5], s[0:1], s[4:5]
	.loc	1 114 21                        ; int8_utils_aot.py:114:21
	s_and_saveexec_b64 s[2:3], s[4:5]
	s_cbranch_execz .LBB0_726
.LBB0_742:
	.loc	1 112 48                        ; int8_utils_aot.py:112:48
	v_lshl_add_u64 v[0:1], v[6:7], 1, v[2:3]
	.loc	1 114 21                        ; int8_utils_aot.py:114:21
	global_store_short v[0:1], v40, off
	s_or_b64 exec, exec, s[2:3]
	.loc	1 113 39                        ; int8_utils_aot.py:113:39
	s_and_b64 s[4:5], s[0:1], s[8:9]
	.loc	1 114 21                        ; int8_utils_aot.py:114:21
	s_and_saveexec_b64 s[2:3], s[4:5]
	s_cbranch_execz .LBB0_727
.LBB0_743:
	.loc	1 112 48                        ; int8_utils_aot.py:112:48
	v_lshl_add_u64 v[0:1], v[8:9], 1, v[2:3]
	.loc	1 114 21                        ; int8_utils_aot.py:114:21
	global_store_short_d16_hi v[0:1], v40, off
	s_or_b64 exec, exec, s[2:3]
	.loc	1 113 39                        ; int8_utils_aot.py:113:39
	s_and_b64 s[4:5], s[0:1], s[10:11]
	.loc	1 114 21                        ; int8_utils_aot.py:114:21
	s_and_saveexec_b64 s[2:3], s[4:5]
	s_cbranch_execz .LBB0_728
.LBB0_744:
	.loc	1 112 48                        ; int8_utils_aot.py:112:48
	v_lshl_add_u64 v[0:1], v[10:11], 1, v[2:3]
	.loc	1 114 21                        ; int8_utils_aot.py:114:21
	global_store_short v[0:1], v39, off
	s_or_b64 exec, exec, s[2:3]
	.loc	1 113 39                        ; int8_utils_aot.py:113:39
	s_and_b64 s[4:5], s[0:1], s[36:37]
	.loc	1 114 21                        ; int8_utils_aot.py:114:21
	s_and_saveexec_b64 s[2:3], s[4:5]
	s_cbranch_execz .LBB0_729
.LBB0_745:
	.loc	1 112 48                        ; int8_utils_aot.py:112:48
	v_lshl_add_u64 v[0:1], v[12:13], 1, v[2:3]
	.loc	1 114 21                        ; int8_utils_aot.py:114:21
	global_store_short_d16_hi v[0:1], v39, off
	s_or_b64 exec, exec, s[2:3]
	.loc	1 113 39                        ; int8_utils_aot.py:113:39
	s_and_b64 s[4:5], s[0:1], s[14:15]
	.loc	1 114 21                        ; int8_utils_aot.py:114:21
	s_and_saveexec_b64 s[2:3], s[4:5]
	s_cbranch_execz .LBB0_730
.LBB0_746:
	.loc	1 112 48                        ; int8_utils_aot.py:112:48
	v_lshl_add_u64 v[0:1], v[14:15], 1, v[2:3]
	.loc	1 114 21                        ; int8_utils_aot.py:114:21
	global_store_short v[0:1], v38, off
	s_or_b64 exec, exec, s[2:3]
	.loc	1 113 39                        ; int8_utils_aot.py:113:39
	s_and_b64 s[4:5], s[0:1], s[16:17]
	.loc	1 114 21                        ; int8_utils_aot.py:114:21
	s_and_saveexec_b64 s[2:3], s[4:5]
	s_cbranch_execz .LBB0_731
.LBB0_747:
	.loc	1 112 48                        ; int8_utils_aot.py:112:48
	v_lshl_add_u64 v[0:1], v[16:17], 1, v[2:3]
	.loc	1 114 21                        ; int8_utils_aot.py:114:21
	global_store_short_d16_hi v[0:1], v38, off
	s_or_b64 exec, exec, s[2:3]
	.loc	1 113 39                        ; int8_utils_aot.py:113:39
	s_and_b64 s[4:5], s[0:1], s[18:19]
	.loc	1 114 21                        ; int8_utils_aot.py:114:21
	s_and_saveexec_b64 s[2:3], s[4:5]
	s_cbranch_execz .LBB0_732
.LBB0_748:
	.loc	1 112 48                        ; int8_utils_aot.py:112:48
	v_lshl_add_u64 v[0:1], v[18:19], 1, v[2:3]
	.loc	1 114 21                        ; int8_utils_aot.py:114:21
	global_store_short v[0:1], v37, off
	s_or_b64 exec, exec, s[2:3]
	.loc	1 113 39                        ; int8_utils_aot.py:113:39
	s_and_b64 s[4:5], s[0:1], s[20:21]
	.loc	1 114 21                        ; int8_utils_aot.py:114:21
	s_and_saveexec_b64 s[2:3], s[4:5]
	s_cbranch_execz .LBB0_733
.LBB0_749:
	.loc	1 112 48                        ; int8_utils_aot.py:112:48
	v_lshl_add_u64 v[0:1], v[20:21], 1, v[2:3]
	.loc	1 114 21                        ; int8_utils_aot.py:114:21
	global_store_short_d16_hi v[0:1], v37, off
	s_or_b64 exec, exec, s[2:3]
	.loc	1 113 39                        ; int8_utils_aot.py:113:39
	s_and_b64 s[4:5], s[0:1], s[22:23]
	.loc	1 114 21                        ; int8_utils_aot.py:114:21
	s_and_saveexec_b64 s[2:3], s[4:5]
	s_cbranch_execz .LBB0_734
.LBB0_750:
	.loc	1 112 48                        ; int8_utils_aot.py:112:48
	v_lshl_add_u64 v[0:1], v[22:23], 1, v[2:3]
	.loc	1 114 21                        ; int8_utils_aot.py:114:21
	global_store_short v[0:1], v36, off
	s_or_b64 exec, exec, s[2:3]
	.loc	1 113 39                        ; int8_utils_aot.py:113:39
	s_and_b64 s[4:5], s[0:1], s[24:25]
	.loc	1 114 21                        ; int8_utils_aot.py:114:21
	s_and_saveexec_b64 s[2:3], s[4:5]
	s_cbranch_execz .LBB0_735
.LBB0_751:
	.loc	1 112 48                        ; int8_utils_aot.py:112:48
	v_lshl_add_u64 v[0:1], v[24:25], 1, v[2:3]
	.loc	1 114 21                        ; int8_utils_aot.py:114:21
	global_store_short_d16_hi v[0:1], v36, off
	s_or_b64 exec, exec, s[2:3]
	.loc	1 113 39                        ; int8_utils_aot.py:113:39
	s_and_b64 s[4:5], s[0:1], s[26:27]
	.loc	1 114 21                        ; int8_utils_aot.py:114:21
	s_and_saveexec_b64 s[2:3], s[4:5]
	s_cbranch_execz .LBB0_736
.LBB0_752:
	.loc	1 112 48                        ; int8_utils_aot.py:112:48
	v_lshl_add_u64 v[0:1], v[26:27], 1, v[2:3]
	.loc	1 114 21                        ; int8_utils_aot.py:114:21
	global_store_short v[0:1], v35, off
	s_or_b64 exec, exec, s[2:3]
	.loc	1 113 39                        ; int8_utils_aot.py:113:39
	s_and_b64 s[4:5], s[0:1], s[28:29]
	.loc	1 114 21                        ; int8_utils_aot.py:114:21
	s_and_saveexec_b64 s[2:3], s[4:5]
	s_cbranch_execz .LBB0_737
.LBB0_753:
	.loc	1 112 48                        ; int8_utils_aot.py:112:48
	v_lshl_add_u64 v[0:1], v[28:29], 1, v[2:3]
	.loc	1 114 21                        ; int8_utils_aot.py:114:21
	global_store_short_d16_hi v[0:1], v35, off
	s_or_b64 exec, exec, s[2:3]
	.loc	1 113 39                        ; int8_utils_aot.py:113:39
	s_and_b64 s[4:5], s[0:1], s[30:31]
	.loc	1 114 21                        ; int8_utils_aot.py:114:21
	s_and_saveexec_b64 s[2:3], s[4:5]
	s_cbranch_execz .LBB0_738
.LBB0_754:
	.loc	1 112 48                        ; int8_utils_aot.py:112:48
	v_lshl_add_u64 v[0:1], v[30:31], 1, v[2:3]
	.loc	1 114 21                        ; int8_utils_aot.py:114:21
	global_store_short v[0:1], v34, off
	s_or_b64 exec, exec, s[2:3]
	.loc	1 113 39                        ; int8_utils_aot.py:113:39
	s_and_b64 s[0:1], s[0:1], s[34:35]
	.loc	1 114 21                        ; int8_utils_aot.py:114:21
	s_and_saveexec_b64 s[2:3], s[0:1]
	s_cbranch_execz .LBB0_739
.LBB0_755:
	.loc	1 112 48                        ; int8_utils_aot.py:112:48
	v_lshl_add_u64 v[0:1], v[32:33], 1, v[2:3]
	.loc	1 114 21                        ; int8_utils_aot.py:114:21
	global_store_short_d16_hi v[0:1], v34, off
	.loc	1 114 4 is_stmt 0               ; int8_utils_aot.py:114:4
	s_endpgm
.Ltmp14:
	.section	.rodata,"a",@progbits
	.p2align	6, 0x0
	.amdhsa_kernel _w8a8_block_int8_matmul
		.amdhsa_group_segment_fixed_size 0
		.amdhsa_private_segment_fixed_size 0
		.amdhsa_kernarg_size 120
		.amdhsa_user_sgpr_count 16
		.amdhsa_user_sgpr_dispatch_ptr 0
		.amdhsa_user_sgpr_queue_ptr 0
		.amdhsa_user_sgpr_kernarg_segment_ptr 1
		.amdhsa_user_sgpr_dispatch_id 0
		.amdhsa_user_sgpr_kernarg_preload_length 14
		.amdhsa_user_sgpr_kernarg_preload_offset 0
		.amdhsa_user_sgpr_private_segment_size 0
		.amdhsa_uses_dynamic_stack 0
		.amdhsa_enable_private_segment 0
		.amdhsa_system_sgpr_workgroup_id_x 1
		.amdhsa_system_sgpr_workgroup_id_y 0
		.amdhsa_system_sgpr_workgroup_id_z 0
		.amdhsa_system_sgpr_workgroup_info 0
		.amdhsa_system_vgpr_workitem_id 0
		.amdhsa_next_free_vgpr 486
		.amdhsa_next_free_sgpr 100
		.amdhsa_accum_offset 256
		.amdhsa_reserve_vcc 1
		.amdhsa_reserve_xnack_mask 1
		.amdhsa_float_round_mode_32 0
		.amdhsa_float_round_mode_16_64 0
		.amdhsa_float_denorm_mode_32 3
		.amdhsa_float_denorm_mode_16_64 3
		.amdhsa_dx10_clamp 1
		.amdhsa_ieee_mode 1
		.amdhsa_fp16_overflow 0
		.amdhsa_tg_split 0
		.amdhsa_exception_fp_ieee_invalid_op 0
		.amdhsa_exception_fp_denorm_src 0
		.amdhsa_exception_fp_ieee_div_zero 0
		.amdhsa_exception_fp_ieee_overflow 0
		.amdhsa_exception_fp_ieee_underflow 0
		.amdhsa_exception_fp_ieee_inexact 0
		.amdhsa_exception_int_div_zero 0
	.end_amdhsa_kernel
	.text
.Lfunc_end0:
	.size	_w8a8_block_int8_matmul, .Lfunc_end0-_w8a8_block_int8_matmul
	.cfi_endproc
                                        ; -- End function
	.set _w8a8_block_int8_matmul.num_vgpr, 256
	.set _w8a8_block_int8_matmul.num_agpr, 230
	.set _w8a8_block_int8_matmul.numbered_sgpr, 100
	.set _w8a8_block_int8_matmul.num_named_barrier, 0
	.set _w8a8_block_int8_matmul.private_seg_size, 0
	.set _w8a8_block_int8_matmul.uses_vcc, 1
	.set _w8a8_block_int8_matmul.uses_flat_scratch, 0
	.set _w8a8_block_int8_matmul.has_dyn_sized_stack, 0
	.set _w8a8_block_int8_matmul.has_recursion, 0
	.set _w8a8_block_int8_matmul.has_indirect_call, 0
	.section	.AMDGPU.csdata,"",@progbits
; Kernel info:
; codeLenInByte = 31628
; TotalNumSgprs: 106
; NumVgprs: 256
; NumAgprs: 230
; TotalNumVgprs: 486
; ScratchSize: 0
; MemoryBound: 0
; FloatMode: 240
; IeeeMode: 1
; LDSByteSize: 0 bytes/workgroup (compile time only)
; SGPRBlocks: 13
; VGPRBlocks: 60
; NumSGPRsForWavesPerEU: 106
; NumVGPRsForWavesPerEU: 486
; AccumOffset: 256
; Occupancy: 1
; WaveLimiterHint : 0
; COMPUTE_PGM_RSRC2:SCRATCH_EN: 0
; COMPUTE_PGM_RSRC2:USER_SGPR: 16
; COMPUTE_PGM_RSRC2:TRAP_HANDLER: 0
; COMPUTE_PGM_RSRC2:TGID_X_EN: 1
; COMPUTE_PGM_RSRC2:TGID_Y_EN: 0
; COMPUTE_PGM_RSRC2:TGID_Z_EN: 0
; COMPUTE_PGM_RSRC2:TIDIG_COMP_CNT: 0
; COMPUTE_PGM_RSRC3_GFX90A:ACCUM_OFFSET: 63
; COMPUTE_PGM_RSRC3_GFX90A:TG_SPLIT: 0
	.text
	.p2alignl 6, 3212836864
	.fill 256, 4, 3212836864
	.section	.AMDGPU.gpr_maximums,"",@progbits
	.set amdgpu.max_num_vgpr, 0
	.set amdgpu.max_num_agpr, 0
	.set amdgpu.max_num_sgpr, 0
	.set amdgpu.max_num_named_barrier, 0
	.text
	.section	.debug_abbrev,"",@progbits
	.byte	1                               ; Abbreviation Code
	.byte	17                              ; DW_TAG_compile_unit
	.byte	1                               ; DW_CHILDREN_yes
	.byte	37                              ; DW_AT_producer
	.byte	14                              ; DW_FORM_strp
	.byte	19                              ; DW_AT_language
	.byte	5                               ; DW_FORM_data2
	.byte	3                               ; DW_AT_name
	.byte	14                              ; DW_FORM_strp
	.byte	16                              ; DW_AT_stmt_list
	.byte	23                              ; DW_FORM_sec_offset
	.byte	27                              ; DW_AT_comp_dir
	.byte	14                              ; DW_FORM_strp
	.byte	17                              ; DW_AT_low_pc
	.byte	1                               ; DW_FORM_addr
	.byte	18                              ; DW_AT_high_pc
	.byte	6                               ; DW_FORM_data4
	.byte	0                               ; EOM(1)
	.byte	0                               ; EOM(2)
	.byte	2                               ; Abbreviation Code
	.byte	46                              ; DW_TAG_subprogram
	.byte	0                               ; DW_CHILDREN_no
	.byte	3                               ; DW_AT_name
	.byte	14                              ; DW_FORM_strp
	.byte	32                              ; DW_AT_inline
	.byte	11                              ; DW_FORM_data1
	.byte	0                               ; EOM(1)
	.byte	0                               ; EOM(2)
	.byte	3                               ; Abbreviation Code
	.byte	46                              ; DW_TAG_subprogram
	.byte	1                               ; DW_CHILDREN_yes
	.byte	17                              ; DW_AT_low_pc
	.byte	1                               ; DW_FORM_addr
	.byte	18                              ; DW_AT_high_pc
	.byte	6                               ; DW_FORM_data4
	.byte	49                              ; DW_AT_abstract_origin
	.byte	19                              ; DW_FORM_ref4
	.byte	0                               ; EOM(1)
	.byte	0                               ; EOM(2)
	.byte	4                               ; Abbreviation Code
	.byte	29                              ; DW_TAG_inlined_subroutine
	.byte	0                               ; DW_CHILDREN_no
	.byte	49                              ; DW_AT_abstract_origin
	.byte	19                              ; DW_FORM_ref4
	.byte	17                              ; DW_AT_low_pc
	.byte	1                               ; DW_FORM_addr
	.byte	18                              ; DW_AT_high_pc
	.byte	6                               ; DW_FORM_data4
	.byte	88                              ; DW_AT_call_file
	.byte	11                              ; DW_FORM_data1
	.byte	89                              ; DW_AT_call_line
	.byte	11                              ; DW_FORM_data1
	.byte	87                              ; DW_AT_call_column
	.byte	11                              ; DW_FORM_data1
	.byte	0                               ; EOM(1)
	.byte	0                               ; EOM(2)
	.byte	5                               ; Abbreviation Code
	.byte	29                              ; DW_TAG_inlined_subroutine
	.byte	0                               ; DW_CHILDREN_no
	.byte	49                              ; DW_AT_abstract_origin
	.byte	19                              ; DW_FORM_ref4
	.byte	85                              ; DW_AT_ranges
	.byte	23                              ; DW_FORM_sec_offset
	.byte	88                              ; DW_AT_call_file
	.byte	11                              ; DW_FORM_data1
	.byte	89                              ; DW_AT_call_line
	.byte	11                              ; DW_FORM_data1
	.byte	87                              ; DW_AT_call_column
	.byte	11                              ; DW_FORM_data1
	.byte	0                               ; EOM(1)
	.byte	0                               ; EOM(2)
	.byte	0                               ; EOM(3)
	.section	.debug_info,"",@progbits
.Lcu_begin0:
	.long	.Ldebug_info_end0-.Ldebug_info_start0 ; Length of Unit
.Ldebug_info_start0:
	.short	4                               ; DWARF version number
	.long	.debug_abbrev                   ; Offset Into Abbrev. Section
	.byte	8                               ; Address Size (in bytes)
	.byte	1                               ; Abbrev [1] 0xb:0x64 DW_TAG_compile_unit
	.long	.Linfo_string0                  ; DW_AT_producer
	.short	2                               ; DW_AT_language
	.long	.Linfo_string1                  ; DW_AT_name
	.long	.Lline_table_start0             ; DW_AT_stmt_list
	.long	.Linfo_string2                  ; DW_AT_comp_dir
	.quad	.Lfunc_begin0                   ; DW_AT_low_pc
	.long	.Lfunc_end0-.Lfunc_begin0       ; DW_AT_high_pc
	.byte	2                               ; Abbrev [2] 0x2a:0x6 DW_TAG_subprogram
	.long	.Linfo_string3                  ; DW_AT_name
	.byte	1                               ; DW_AT_inline
	.byte	3                               ; Abbrev [3] 0x30:0x3e DW_TAG_subprogram
	.quad	.Lfunc_begin0                   ; DW_AT_low_pc
	.long	.Lfunc_end0-.Lfunc_begin0       ; DW_AT_high_pc
	.long	42                              ; DW_AT_abstract_origin
	.byte	4                               ; Abbrev [4] 0x41:0x14 DW_TAG_inlined_subroutine
	.long	42                              ; DW_AT_abstract_origin
	.quad	.Ltmp2                          ; DW_AT_low_pc
	.long	.Ltmp3-.Ltmp2                   ; DW_AT_high_pc
	.byte	1                               ; DW_AT_call_file
	.byte	71                              ; DW_AT_call_line
	.byte	27                              ; DW_AT_call_column
	.byte	5                               ; Abbrev [5] 0x55:0xc DW_TAG_inlined_subroutine
	.long	42                              ; DW_AT_abstract_origin
	.long	.Ldebug_ranges0                 ; DW_AT_ranges
	.byte	1                               ; DW_AT_call_file
	.byte	70                              ; DW_AT_call_line
	.byte	27                              ; DW_AT_call_column
	.byte	5                               ; Abbrev [5] 0x61:0xc DW_TAG_inlined_subroutine
	.long	42                              ; DW_AT_abstract_origin
	.long	.Ldebug_ranges1                 ; DW_AT_ranges
	.byte	1                               ; DW_AT_call_file
	.byte	90                              ; DW_AT_call_line
	.byte	33                              ; DW_AT_call_column
	.byte	0                               ; End Of Children Mark
	.byte	0                               ; End Of Children Mark
.Ldebug_info_end0:
	.section	.debug_ranges,"",@progbits
.Ldebug_ranges0:
	.quad	.Ltmp4-.Lfunc_begin0
	.quad	.Ltmp5-.Lfunc_begin0
	;; [unrolled: 1-line block ×6, first 2 shown]
	.quad	0
	.quad	0
.Ldebug_ranges1:
	.quad	.Ltmp10-.Lfunc_begin0
	.quad	.Ltmp11-.Lfunc_begin0
	;; [unrolled: 1-line block ×4, first 2 shown]
	.quad	0
	.quad	0
	.section	.debug_str,"MS",@progbits,1
.Linfo_string0:
	.asciz	"triton"                        ; string offset=0
.Linfo_string1:
	.asciz	"int8_utils_aot.py"             ; string offset=7
.Linfo_string2:
	.asciz	"/root/src/amdgpu-assembly/repos/vllm-project__vllm/triton_aot_kernels" ; string offset=25
.Linfo_string3:
	.asciz	"_w8a8_block_int8_matmul"       ; string offset=95
	.section	".note.GNU-stack","",@progbits
	.amdgpu_metadata
---
amdhsa.kernels:
  - .agpr_count:     230
    .args:
      - .address_space:  global
        .offset:         0
        .size:           8
        .value_kind:     global_buffer
      - .address_space:  global
        .offset:         8
        .size:           8
        .value_kind:     global_buffer
      - .address_space:  global
        .offset:         16
        .size:           8
        .value_kind:     global_buffer
      - .address_space:  global
        .offset:         24
        .size:           8
        .value_kind:     global_buffer
      - .address_space:  global
        .offset:         32
        .size:           8
        .value_kind:     global_buffer
      - .offset:         40
        .size:           4
        .value_kind:     by_value
      - .offset:         44
        .size:           4
        .value_kind:     by_value
      - .offset:         48
        .size:           4
        .value_kind:     by_value
      - .offset:         52
        .size:           4
        .value_kind:     by_value
      - .offset:         56
        .size:           4
        .value_kind:     by_value
      - .offset:         60
        .size:           4
        .value_kind:     by_value
      - .offset:         64
        .size:           4
        .value_kind:     by_value
      - .offset:         68
        .size:           4
        .value_kind:     by_value
      - .offset:         72
        .size:           4
        .value_kind:     by_value
      - .offset:         76
        .size:           4
        .value_kind:     by_value
      - .offset:         80
        .size:           4
        .value_kind:     by_value
      - .offset:         84
        .size:           4
        .value_kind:     by_value
      - .offset:         88
        .size:           4
        .value_kind:     by_value
      - .offset:         92
        .size:           4
        .value_kind:     by_value
      - .offset:         96
        .size:           4
        .value_kind:     by_value
      - .address_space:  global
        .offset:         104
        .size:           8
        .value_kind:     global_buffer
      - .address_space:  global
        .offset:         112
        .size:           8
        .value_kind:     global_buffer
    .group_segment_fixed_size: 0
    .kernarg_segment_align: 8
    .kernarg_segment_size: 120
    .max_flat_workgroup_size: 256
    .name:           _w8a8_block_int8_matmul
    .private_segment_fixed_size: 0
    .sgpr_count:     106
    .sgpr_spill_count: 30
    .symbol:         _w8a8_block_int8_matmul.kd
    .uniform_work_group_size: 1
    .uses_dynamic_stack: false
    .vgpr_count:     486
    .vgpr_spill_count: 0
    .wavefront_size: 64
amdhsa.target:   amdgcn-amd-amdhsa--gfx950
amdhsa.version:
  - 1
  - 2
...

	.end_amdgpu_metadata
	.section	.debug_line,"",@progbits
.Lline_table_start0:
